;; amdgpu-corpus repo=ROCm/rocFFT kind=compiled arch=gfx906 opt=O3
	.text
	.amdgcn_target "amdgcn-amd-amdhsa--gfx906"
	.amdhsa_code_object_version 6
	.protected	bluestein_single_fwd_len525_dim1_half_op_CI_CI ; -- Begin function bluestein_single_fwd_len525_dim1_half_op_CI_CI
	.globl	bluestein_single_fwd_len525_dim1_half_op_CI_CI
	.p2align	8
	.type	bluestein_single_fwd_len525_dim1_half_op_CI_CI,@function
bluestein_single_fwd_len525_dim1_half_op_CI_CI: ; @bluestein_single_fwd_len525_dim1_half_op_CI_CI
; %bb.0:
	s_load_dwordx4 s[0:3], s[4:5], 0x28
	v_mul_u32_u24_e32 v1, 0x271, v0
	v_add_u32_sdwa v8, s6, v1 dst_sel:DWORD dst_unused:UNUSED_PAD src0_sel:DWORD src1_sel:WORD_1
	v_mov_b32_e32 v9, 0
	s_waitcnt lgkmcnt(0)
	v_cmp_gt_u64_e32 vcc, s[0:1], v[8:9]
	s_and_saveexec_b64 s[0:1], vcc
	s_cbranch_execz .LBB0_23
; %bb.1:
	s_load_dwordx2 s[12:13], s[4:5], 0x0
	s_load_dwordx2 s[6:7], s[4:5], 0x38
	s_movk_i32 s0, 0x69
	v_mul_lo_u16_sdwa v1, v1, s0 dst_sel:DWORD dst_unused:UNUSED_PAD src0_sel:WORD_1 src1_sel:DWORD
	v_sub_u16_e32 v19, v0, v1
	s_movk_i32 s0, 0x4b
	v_cmp_gt_u16_e32 vcc, s0, v19
	v_lshlrev_b32_e32 v20, 2, v19
	s_and_saveexec_b64 s[8:9], vcc
	s_cbranch_execz .LBB0_3
; %bb.2:
	s_load_dwordx2 s[0:1], s[4:5], 0x18
	s_waitcnt lgkmcnt(0)
	s_load_dwordx4 s[16:19], s[0:1], 0x0
	s_waitcnt lgkmcnt(0)
	v_mad_u64_u32 v[0:1], s[0:1], s18, v8, 0
	v_mad_u64_u32 v[2:3], s[0:1], s16, v19, 0
	;; [unrolled: 1-line block ×4, first 2 shown]
	v_mov_b32_e32 v1, v4
	v_lshlrev_b64 v[0:1], 2, v[0:1]
	v_mov_b32_e32 v3, v5
	v_mov_b32_e32 v6, s3
	v_lshlrev_b64 v[2:3], 2, v[2:3]
	v_add_co_u32_e64 v0, s[0:1], s2, v0
	v_addc_co_u32_e64 v1, s[0:1], v6, v1, s[0:1]
	v_add_co_u32_e64 v0, s[0:1], v0, v2
	v_addc_co_u32_e64 v1, s[0:1], v1, v3, s[0:1]
	s_mul_i32 s0, s17, 0x12c
	s_mul_hi_u32 s1, s16, 0x12c
	s_add_i32 s2, s1, s0
	s_mul_i32 s3, s16, 0x12c
	v_mov_b32_e32 v3, s2
	v_add_co_u32_e64 v2, s[0:1], s3, v0
	v_addc_co_u32_e64 v3, s[0:1], v1, v3, s[0:1]
	global_load_dword v4, v[0:1], off
	global_load_dword v5, v[2:3], off
	global_load_dword v6, v20, s[12:13]
	global_load_dword v7, v20, s[12:13] offset:300
	v_mov_b32_e32 v1, s2
	v_add_co_u32_e64 v0, s[0:1], s3, v2
	v_addc_co_u32_e64 v1, s[0:1], v3, v1, s[0:1]
	global_load_dword v2, v[0:1], off
	global_load_dword v3, v20, s[12:13] offset:600
	v_mov_b32_e32 v9, s2
	v_add_co_u32_e64 v0, s[0:1], s3, v0
	v_addc_co_u32_e64 v1, s[0:1], v1, v9, s[0:1]
	global_load_dword v9, v[0:1], off
	;; [unrolled: 5-line block ×5, first 2 shown]
	global_load_dword v16, v20, s[12:13] offset:1800
	v_add_u32_e32 v0, 0x400, v20
	s_waitcnt vmcnt(13)
	v_lshrrev_b32_e32 v1, 16, v4
	s_waitcnt vmcnt(11)
	v_mul_f16_sdwa v17, v6, v4 dst_sel:DWORD dst_unused:UNUSED_PAD src0_sel:WORD_1 src1_sel:DWORD
	v_mul_f16_sdwa v18, v6, v1 dst_sel:DWORD dst_unused:UNUSED_PAD src0_sel:WORD_1 src1_sel:DWORD
	v_fma_f16 v1, v6, v1, -v17
	v_lshrrev_b32_e32 v17, 16, v5
	s_waitcnt vmcnt(10)
	v_mul_f16_sdwa v21, v7, v5 dst_sel:DWORD dst_unused:UNUSED_PAD src0_sel:WORD_1 src1_sel:DWORD
	v_fma_f16 v4, v6, v4, v18
	v_mul_f16_sdwa v6, v7, v17 dst_sel:DWORD dst_unused:UNUSED_PAD src0_sel:WORD_1 src1_sel:DWORD
	s_waitcnt vmcnt(9)
	v_lshrrev_b32_e32 v18, 16, v2
	v_fma_f16 v17, v7, v17, -v21
	s_waitcnt vmcnt(8)
	v_mul_f16_sdwa v21, v3, v2 dst_sel:DWORD dst_unused:UNUSED_PAD src0_sel:WORD_1 src1_sel:DWORD
	v_pack_b32_f16 v1, v4, v1
	v_fma_f16 v4, v7, v5, v6
	v_mul_f16_sdwa v5, v3, v18 dst_sel:DWORD dst_unused:UNUSED_PAD src0_sel:WORD_1 src1_sel:DWORD
	s_waitcnt vmcnt(7)
	v_lshrrev_b32_e32 v7, 16, v9
	v_fma_f16 v6, v3, v18, -v21
	s_waitcnt vmcnt(6)
	v_mul_f16_sdwa v18, v10, v9 dst_sel:DWORD dst_unused:UNUSED_PAD src0_sel:WORD_1 src1_sel:DWORD
	v_pack_b32_f16 v4, v4, v17
	v_fma_f16 v2, v3, v2, v5
	v_mul_f16_sdwa v3, v10, v7 dst_sel:DWORD dst_unused:UNUSED_PAD src0_sel:WORD_1 src1_sel:DWORD
	v_fma_f16 v5, v10, v7, -v18
	s_waitcnt vmcnt(5)
	v_lshrrev_b32_e32 v7, 16, v11
	s_waitcnt vmcnt(4)
	v_mul_f16_sdwa v17, v12, v11 dst_sel:DWORD dst_unused:UNUSED_PAD src0_sel:WORD_1 src1_sel:DWORD
	ds_write2_b32 v20, v1, v4 offset1:75
	v_pack_b32_f16 v1, v2, v6
	v_fma_f16 v2, v10, v9, v3
	s_waitcnt vmcnt(3)
	v_lshrrev_b32_e32 v6, 16, v13
	v_mul_f16_sdwa v3, v12, v7 dst_sel:DWORD dst_unused:UNUSED_PAD src0_sel:WORD_1 src1_sel:DWORD
	v_fma_f16 v4, v12, v7, -v17
	s_waitcnt vmcnt(2)
	v_mul_f16_sdwa v7, v14, v13 dst_sel:DWORD dst_unused:UNUSED_PAD src0_sel:WORD_1 src1_sel:DWORD
	v_pack_b32_f16 v2, v2, v5
	v_mul_f16_sdwa v5, v14, v6 dst_sel:DWORD dst_unused:UNUSED_PAD src0_sel:WORD_1 src1_sel:DWORD
	v_fma_f16 v3, v12, v11, v3
	v_fma_f16 v6, v14, v6, -v7
	ds_write2_b32 v20, v1, v2 offset0:150 offset1:225
	v_fma_f16 v2, v14, v13, v5
	s_waitcnt vmcnt(1)
	v_lshrrev_b32_e32 v7, 16, v15
	v_pack_b32_f16 v1, v3, v4
	v_pack_b32_f16 v2, v2, v6
	ds_write2_b32 v0, v1, v2 offset0:44 offset1:119
	s_waitcnt vmcnt(0)
	v_mul_f16_sdwa v0, v16, v7 dst_sel:DWORD dst_unused:UNUSED_PAD src0_sel:WORD_1 src1_sel:DWORD
	v_mul_f16_sdwa v1, v16, v15 dst_sel:DWORD dst_unused:UNUSED_PAD src0_sel:WORD_1 src1_sel:DWORD
	v_fma_f16 v0, v16, v15, v0
	v_fma_f16 v1, v16, v7, -v1
	v_pack_b32_f16 v0, v0, v1
	ds_write_b32 v20, v0 offset:1800
.LBB0_3:
	s_or_b64 exec, exec, s[8:9]
	v_mov_b32_e32 v1, 0
	v_mov_b32_e32 v2, 0
	;; [unrolled: 1-line block ×4, first 2 shown]
	s_waitcnt lgkmcnt(0)
	s_barrier
	s_waitcnt lgkmcnt(0)
                                        ; implicit-def: $vgpr6
                                        ; implicit-def: $vgpr7
                                        ; implicit-def: $vgpr3
	s_and_saveexec_b64 s[0:1], vcc
	s_cbranch_execz .LBB0_5
; %bb.4:
	ds_read_b32 v7, v20 offset:1800
	ds_read2_b32 v[2:3], v20 offset0:150 offset1:225
	v_add_u32_e32 v0, 0x400, v20
	ds_read2_b32 v[4:5], v0 offset0:44 offset1:119
	ds_read2_b32 v[0:1], v20 offset1:75
	s_mov_b32 s2, 0xffff
	s_waitcnt lgkmcnt(3)
	v_lshrrev_b32_e32 v6, 16, v7
	s_waitcnt lgkmcnt(2)
	v_bfi_b32 v7, s2, v7, v3
	s_waitcnt lgkmcnt(1)
	v_bfi_b32 v3, s2, v3, v5
.LBB0_5:
	s_or_b64 exec, exec, s[0:1]
	s_load_dwordx2 s[8:9], s[4:5], 0x20
	s_load_dwordx2 s[2:3], s[4:5], 0x8
	s_mov_b32 s4, 0xffff
	s_waitcnt lgkmcnt(0)
	v_bfi_b32 v11, s4, v1, v4
	v_bfi_b32 v13, s4, v4, v2
	s_mov_b32 s0, 0x5040100
	v_add_f16_sdwa v9, v6, v1 dst_sel:DWORD dst_unused:UNUSED_PAD src0_sel:DWORD src1_sel:WORD_1
	v_add_f16_e32 v10, v5, v2
	v_pk_add_f16 v12, v11, v7 neg_lo:[0,1] neg_hi:[0,1]
	v_pk_add_f16 v14, v13, v3 neg_lo:[0,1] neg_hi:[0,1]
	v_pk_add_f16 v13, v3, v13
	v_pk_add_f16 v11, v7, v11
	v_alignbit_b32 v1, v4, v1, 16
	v_perm_b32 v3, v3, v6, s0
	v_pk_add_f16 v1, v1, v3 neg_lo:[0,1] neg_hi:[0,1]
	v_alignbit_b32 v2, v2, v4, 16
	v_alignbit_b32 v3, v5, v7, 16
	v_pack_b32_f16 v4, v11, v9
	v_bfi_b32 v5, s4, v10, v13
	v_pack_b32_f16 v6, v13, v9
	v_bfi_b32 v7, s4, v10, v11
	v_pk_add_f16 v3, v2, v3 neg_lo:[0,1] neg_hi:[0,1]
	v_pk_add_f16 v2, v4, v5
	v_pk_add_f16 v6, v6, v7 neg_lo:[0,1] neg_hi:[0,1]
	v_pk_add_f16 v7, v11, v13 neg_lo:[0,1] neg_hi:[0,1]
	v_bfi_b32 v11, s4, v13, v11
	s_mov_b32 s0, 0x7060302
	v_pk_add_f16 v11, v2, v11
	s_mov_b32 s1, 0x3a522b26
	v_perm_b32 v9, v1, v14, s0
	v_pack_b32_f16 v15, v3, v12
	v_pk_add_f16 v2, v11, v0
	v_pk_mul_f16 v0, v6, s1
	s_mov_b32 s1, 0x2b263a52
	v_pk_add_f16 v10, v9, v3
	v_pk_add_f16 v9, v15, v9 neg_lo:[0,1] neg_hi:[0,1]
	v_pk_add_f16 v15, v1, v3 neg_lo:[0,1] neg_hi:[0,1]
	v_pack_b32_f16 v1, v1, v12
	v_pk_mul_f16 v6, v7, s1
	s_mov_b32 s5, 0xb8463574
	s_mov_b32 s10, 0x3574b846
	v_perm_b32 v3, v3, v14, s0
	v_pk_add_f16 v10, v1, v10
	v_pk_mul_f16 v12, v15, s5
	v_pk_mul_f16 v9, v9, s10
	v_pk_fma_f16 v7, v7, s1, v0
	v_pk_add_f16 v4, v5, v4 neg_lo:[0,1] neg_hi:[0,1]
	v_pk_add_f16 v1, v3, v1 neg_lo:[0,1] neg_hi:[0,1]
	v_bfi_b32 v3, s4, v0, v6
	s_movk_i32 s0, 0x39e0
	v_bfi_b32 v0, s4, v6, v0
	s_mov_b32 s10, 0xbcab
	v_pk_fma_f16 v13, v15, s5, v9
	v_pk_fma_f16 v3, v4, s0, v3 op_sel_hi:[1,0,1] neg_lo:[0,0,1] neg_hi:[0,0,1]
	v_bfi_b32 v5, s4, v9, v12
	s_movk_i32 s5, 0x3b00
	v_pk_fma_f16 v0, v4, s0, v0 op_sel_hi:[1,0,1] neg_lo:[1,0,1] neg_hi:[1,0,1]
	v_bfi_b32 v4, s4, v12, v9
	v_pk_fma_f16 v11, v11, s10, v2 op_sel_hi:[1,0,1]
	s_movk_i32 s1, 0x370e
	v_pk_fma_f16 v5, v1, s5, v5 op_sel_hi:[1,0,1] neg_lo:[0,0,1] neg_hi:[0,0,1]
	v_pk_fma_f16 v1, v1, s5, v4 op_sel_hi:[1,0,1] neg_lo:[1,0,1] neg_hi:[1,0,1]
	v_pk_add_f16 v15, v7, v11
	v_pk_fma_f16 v13, v10, s1, v13 op_sel_hi:[1,0,1]
	v_pk_add_f16 v3, v3, v11
	v_pk_fma_f16 v7, v10, s1, v5 op_sel_hi:[1,0,1]
	;; [unrolled: 2-line block ×3, first 2 shown]
	v_sub_f16_e32 v0, v3, v7
	v_pk_add_f16 v1, v3, v7
	v_alignbit_b32 v3, v4, v3, 16
	v_alignbit_b32 v6, v5, v7, 16
	v_pk_add_f16 v7, v5, v4
	v_pk_add_f16 v9, v15, v13
	v_pk_add_f16 v10, v15, v13 neg_lo:[0,1] neg_hi:[0,1]
	v_pk_add_f16 v3, v3, v6 neg_lo:[0,1] neg_hi:[0,1]
	v_lshrrev_b32_e32 v6, 16, v7
	v_bfi_b32 v25, s4, v10, v9
	v_mul_lo_u16_e32 v23, 7, v19
	s_barrier
	s_and_saveexec_b64 s[0:1], vcc
	s_cbranch_execz .LBB0_7
; %bb.6:
	v_pk_add_f16 v4, v4, v5 neg_lo:[0,1] neg_hi:[0,1]
	v_bfi_b32 v4, s4, v7, v4
	v_lshlrev_b32_e32 v5, 2, v23
	v_bfi_b32 v7, s4, v9, v10
	ds_write2_b32 v5, v2, v7 offset1:1
	ds_write_b32 v5, v4 offset:8
	ds_write_b16 v5, v0 offset:12
	v_alignbit_b32 v2, v1, v1, 16
	ds_write_b64 v5, v[2:3] offset:14
	ds_write_b16 v5, v6 offset:22
	ds_write_b32 v5, v25 offset:24
.LBB0_7:
	s_or_b64 exec, exec, s[0:1]
	s_waitcnt lgkmcnt(0)
	s_barrier
	ds_read2_b32 v[4:5], v20 offset1:175
	ds_read_b32 v7, v20 offset:1400
	s_movk_i32 s0, 0x46
	v_cmp_gt_u16_e64 s[0:1], s0, v19
	v_lshrrev_b32_e32 v2, 16, v1
	v_lshrrev_b32_e32 v13, 16, v3
	s_and_saveexec_b64 s[4:5], s[0:1]
	s_cbranch_execz .LBB0_9
; %bb.8:
	v_add_u32_e32 v0, 0x100, v20
	ds_read2_b32 v[0:1], v0 offset0:41 offset1:216
	ds_read_b32 v13, v20 offset:1820
	s_waitcnt lgkmcnt(1)
	v_lshrrev_b32_e32 v2, 16, v0
	v_lshrrev_b32_e32 v3, 16, v1
	s_waitcnt lgkmcnt(0)
	v_lshrrev_b32_e32 v6, 16, v13
.LBB0_9:
	s_or_b64 exec, exec, s[4:5]
	v_mov_b32_e32 v9, 37
	v_mul_lo_u16_sdwa v10, v19, v9 dst_sel:DWORD dst_unused:UNUSED_PAD src0_sel:BYTE_0 src1_sel:DWORD
	v_sub_u16_sdwa v11, v19, v10 dst_sel:DWORD dst_unused:UNUSED_PAD src0_sel:DWORD src1_sel:BYTE_1
	v_lshrrev_b16_e32 v11, 1, v11
	v_add_u16_e32 v16, 0x69, v19
	v_and_b32_e32 v11, 0x7f, v11
	v_mul_lo_u16_sdwa v9, v16, v9 dst_sel:DWORD dst_unused:UNUSED_PAD src0_sel:BYTE_0 src1_sel:DWORD
	v_add_u16_sdwa v10, v11, v10 dst_sel:DWORD dst_unused:UNUSED_PAD src0_sel:DWORD src1_sel:BYTE_1
	v_sub_u16_sdwa v11, v16, v9 dst_sel:DWORD dst_unused:UNUSED_PAD src0_sel:DWORD src1_sel:BYTE_1
	v_lshrrev_b16_e32 v11, 1, v11
	v_and_b32_e32 v11, 0x7f, v11
	v_lshrrev_b16_e32 v14, 2, v10
	v_add_u16_sdwa v9, v11, v9 dst_sel:DWORD dst_unused:UNUSED_PAD src0_sel:DWORD src1_sel:BYTE_1
	v_mul_lo_u16_e32 v10, 7, v14
	v_lshrrev_b16_e32 v21, 2, v9
	v_sub_u16_e32 v10, v19, v10
	v_mul_lo_u16_e32 v9, 7, v21
	v_and_b32_e32 v15, 0xff, v10
	v_sub_u16_e32 v9, v16, v9
	v_lshlrev_b32_e32 v10, 3, v15
	v_and_b32_e32 v22, 0xff, v9
	global_load_dwordx2 v[11:12], v10, s[2:3]
	v_lshlrev_b32_e32 v9, 3, v22
	global_load_dwordx2 v[9:10], v9, s[2:3]
	s_waitcnt lgkmcnt(1)
	v_lshrrev_b32_e32 v17, 16, v5
	s_waitcnt lgkmcnt(0)
	v_lshrrev_b32_e32 v18, 16, v7
	v_mul_u32_u24_e32 v14, 21, v14
	v_add_lshl_u32 v24, v14, v15, 2
	s_load_dwordx4 s[8:11], s[8:9], 0x0
	v_lshrrev_b32_e32 v16, 16, v4
	s_movk_i32 s4, 0x3aee
	s_mov_b32 s5, 0xbaee
	s_movk_i32 s17, 0x69
	s_waitcnt vmcnt(0) lgkmcnt(0)
	s_barrier
	v_mul_f16_sdwa v14, v17, v11 dst_sel:DWORD dst_unused:UNUSED_PAD src0_sel:DWORD src1_sel:WORD_1
	v_mul_f16_sdwa v15, v5, v11 dst_sel:DWORD dst_unused:UNUSED_PAD src0_sel:DWORD src1_sel:WORD_1
	;; [unrolled: 1-line block ×8, first 2 shown]
	v_fma_f16 v15, v17, v11, v15
	v_fma_f16 v14, v5, v11, -v14
	v_fma_f16 v17, v7, v12, -v26
	v_fma_f16 v18, v18, v12, v27
	v_fma_f16 v1, v1, v9, -v28
	v_fma_f16 v5, v3, v9, v29
	;; [unrolled: 2-line block ×3, first 2 shown]
	v_add_f16_e32 v27, v14, v17
	v_sub_f16_e32 v28, v15, v18
	v_add_f16_e32 v29, v16, v15
	v_add_f16_e32 v15, v15, v18
	;; [unrolled: 1-line block ×3, first 2 shown]
	v_sub_f16_e32 v14, v14, v17
	v_add_f16_e32 v30, v1, v3
	v_add_f16_e32 v31, v5, v6
	v_fma_f16 v27, v27, -0.5, v4
	v_fma_f16 v16, v15, -0.5, v16
	v_sub_f16_e32 v7, v5, v6
	v_sub_f16_e32 v13, v1, v3
	v_add_f16_e32 v17, v26, v17
	v_add_f16_e32 v18, v29, v18
	v_fma_f16 v4, v30, -0.5, v0
	v_fma_f16 v15, v31, -0.5, v2
	v_fma_f16 v26, v28, s4, v27
	v_fma_f16 v29, v14, s5, v16
	;; [unrolled: 1-line block ×6, first 2 shown]
	v_pack_b32_f16 v17, v17, v18
	v_pack_b32_f16 v18, v26, v29
	;; [unrolled: 1-line block ×3, first 2 shown]
	ds_write2_b32 v24, v17, v18 offset1:7
	ds_write_b32 v24, v16 offset:56
	s_and_saveexec_b64 s[4:5], s[0:1]
	s_cbranch_execz .LBB0_11
; %bb.10:
	v_mul_f16_e32 v7, 0x3aee, v7
	v_mul_f16_e32 v13, 0x3aee, v13
	v_add_f16_e32 v2, v2, v5
	v_add_f16_e32 v0, v0, v1
	v_sub_f16_e32 v13, v15, v13
	v_add_f16_e32 v4, v7, v4
	v_add_f16_e32 v2, v2, v6
	;; [unrolled: 1-line block ×3, first 2 shown]
	v_mul_u32_u24_e32 v1, 21, v21
	v_add_lshl_u32 v1, v1, v22, 2
	v_pack_b32_f16 v0, v0, v2
	v_pack_b32_f16 v2, v4, v13
	s_mov_b32 s14, 0x5040100
	ds_write2_b32 v1, v0, v2 offset1:7
	v_perm_b32 v0, v27, v14, s14
	ds_write_b32 v1, v0 offset:56
.LBB0_11:
	s_or_b64 exec, exec, s[4:5]
	s_movk_i32 s4, 0x87
	v_mul_lo_u16_sdwa v0, v19, s4 dst_sel:DWORD dst_unused:UNUSED_PAD src0_sel:BYTE_0 src1_sel:DWORD
	v_sub_u16_sdwa v1, v19, v0 dst_sel:DWORD dst_unused:UNUSED_PAD src0_sel:DWORD src1_sel:BYTE_1
	v_lshrrev_b16_e32 v1, 1, v1
	v_and_b32_e32 v1, 0x7f, v1
	v_add_u16_sdwa v0, v1, v0 dst_sel:DWORD dst_unused:UNUSED_PAD src0_sel:DWORD src1_sel:BYTE_1
	v_lshrrev_b16_e32 v0, 4, v0
	v_and_b32_e32 v13, 15, v0
	v_mul_lo_u16_e32 v0, 21, v13
	v_sub_u16_e32 v0, v19, v0
	v_and_b32_e32 v15, 0xff, v0
	v_lshlrev_b32_e32 v0, 4, v15
	s_waitcnt lgkmcnt(0)
	s_barrier
	global_load_dwordx4 v[0:3], v0, s[2:3] offset:56
	v_add_u32_e32 v28, 0x400, v20
	ds_read_b32 v16, v20
	ds_read2_b32 v[4:5], v20 offset0:105 offset1:210
	ds_read2_b32 v[6:7], v28 offset0:59 offset1:164
	s_movk_i32 s5, 0x3b9c
	s_mov_b32 s15, 0xbb9c
	s_waitcnt lgkmcnt(2)
	v_lshrrev_b32_e32 v17, 16, v16
	s_waitcnt lgkmcnt(1)
	v_lshrrev_b32_e32 v18, 16, v4
	v_lshrrev_b32_e32 v26, 16, v5
	s_waitcnt lgkmcnt(0)
	v_lshrrev_b32_e32 v29, 16, v6
	v_lshrrev_b32_e32 v30, 16, v7
	s_movk_i32 s4, 0x38b4
	s_mov_b32 s16, 0xb8b4
	s_movk_i32 s14, 0x34f2
	v_mul_u32_u24_sdwa v13, v13, s17 dst_sel:DWORD dst_unused:UNUSED_PAD src0_sel:WORD_0 src1_sel:DWORD
	s_waitcnt vmcnt(0)
	s_barrier
	v_mul_f16_sdwa v31, v18, v0 dst_sel:DWORD dst_unused:UNUSED_PAD src0_sel:DWORD src1_sel:WORD_1
	v_mul_f16_sdwa v32, v4, v0 dst_sel:DWORD dst_unused:UNUSED_PAD src0_sel:DWORD src1_sel:WORD_1
	;; [unrolled: 1-line block ×8, first 2 shown]
	v_fma_f16 v18, v18, v0, v32
	v_fma_f16 v4, v4, v0, -v31
	v_fma_f16 v5, v5, v1, -v33
	v_fma_f16 v26, v26, v1, v34
	v_fma_f16 v6, v6, v2, -v35
	v_fma_f16 v29, v29, v2, v36
	v_fma_f16 v7, v7, v3, -v37
	v_fma_f16 v30, v30, v3, v38
	v_add_f16_e32 v31, v16, v4
	v_add_f16_e32 v32, v5, v6
	;; [unrolled: 1-line block ×5, first 2 shown]
	v_sub_f16_e32 v33, v4, v5
	v_sub_f16_e32 v34, v7, v6
	;; [unrolled: 1-line block ×7, first 2 shown]
	v_add_f16_e32 v44, v18, v30
	v_sub_f16_e32 v18, v18, v30
	v_sub_f16_e32 v46, v26, v29
	;; [unrolled: 1-line block ×3, first 2 shown]
	v_fma_f16 v32, v32, -0.5, v16
	v_fma_f16 v16, v35, -0.5, v16
	v_add_f16_e32 v5, v31, v5
	v_fma_f16 v31, v42, -0.5, v17
	v_add_f16_e32 v26, v45, v26
	v_sub_f16_e32 v39, v30, v29
	v_sub_f16_e32 v41, v29, v30
	v_add_f16_e32 v33, v33, v34
	v_add_f16_e32 v34, v36, v37
	v_fma_f16 v17, v44, -0.5, v17
	v_add_f16_e32 v5, v5, v6
	v_add_f16_e32 v6, v26, v29
	v_fma_f16 v26, v18, s5, v32
	v_fma_f16 v29, v18, s15, v32
	;; [unrolled: 1-line block ×5, first 2 shown]
	v_add_f16_e32 v35, v38, v39
	v_fma_f16 v31, v4, s5, v31
	v_fma_f16 v38, v43, s5, v17
	v_add_f16_e32 v5, v5, v7
	v_fma_f16 v7, v46, s4, v26
	v_fma_f16 v26, v46, s16, v29
	;; [unrolled: 1-line block ×6, first 2 shown]
	v_add_f16_e32 v36, v40, v41
	v_add_f16_e32 v6, v6, v30
	v_fma_f16 v30, v43, s4, v31
	v_fma_f16 v31, v4, s16, v38
	v_fma_f16 v7, v33, s14, v7
	v_fma_f16 v18, v35, s14, v18
	v_fma_f16 v4, v4, s4, v17
	v_fma_f16 v32, v33, s14, v26
	v_fma_f16 v29, v34, s14, v29
	v_fma_f16 v16, v34, s14, v16
	v_fma_f16 v31, v36, s14, v31
	v_fma_f16 v4, v36, s14, v4
	v_add_lshl_u32 v26, v13, v15, 2
	v_pack_b32_f16 v5, v5, v6
	v_pack_b32_f16 v6, v7, v18
	v_fma_f16 v30, v35, s14, v30
	ds_write2_b32 v26, v5, v6 offset1:21
	v_pack_b32_f16 v5, v29, v31
	v_pack_b32_f16 v4, v16, v4
	ds_write2_b32 v26, v5, v4 offset0:42 offset1:63
	v_pack_b32_f16 v4, v32, v30
	ds_write_b32 v26, v4 offset:336
	v_lshlrev_b32_e32 v4, 4, v19
	s_waitcnt lgkmcnt(0)
	s_barrier
	global_load_dwordx4 v[4:7], v4, s[2:3] offset:392
	ds_read2_b32 v[15:16], v20 offset0:105 offset1:210
	ds_read2_b32 v[17:18], v28 offset0:59 offset1:164
	ds_read_b32 v13, v20
	s_waitcnt lgkmcnt(2)
	v_lshrrev_b32_e32 v29, 16, v15
	v_lshrrev_b32_e32 v30, 16, v16
	s_waitcnt lgkmcnt(1)
	v_lshrrev_b32_e32 v31, 16, v17
	v_lshrrev_b32_e32 v32, 16, v18
	s_waitcnt lgkmcnt(0)
	v_lshrrev_b32_e32 v33, 16, v13
	s_waitcnt vmcnt(0)
	v_mul_f16_sdwa v34, v29, v4 dst_sel:DWORD dst_unused:UNUSED_PAD src0_sel:DWORD src1_sel:WORD_1
	v_mul_f16_sdwa v36, v30, v5 dst_sel:DWORD dst_unused:UNUSED_PAD src0_sel:DWORD src1_sel:WORD_1
	;; [unrolled: 1-line block ×8, first 2 shown]
	v_fma_f16 v15, v15, v4, -v34
	v_fma_f16 v16, v16, v5, -v36
	;; [unrolled: 1-line block ×4, first 2 shown]
	v_fma_f16 v34, v29, v4, v35
	v_fma_f16 v35, v30, v5, v37
	;; [unrolled: 1-line block ×4, first 2 shown]
	v_add_f16_e32 v29, v16, v17
	v_add_f16_e32 v39, v13, v15
	;; [unrolled: 1-line block ×3, first 2 shown]
	v_sub_f16_e32 v30, v34, v32
	v_sub_f16_e32 v31, v35, v36
	;; [unrolled: 1-line block ×8, first 2 shown]
	v_add_f16_e32 v44, v35, v36
	v_fma_f16 v29, v29, -0.5, v13
	v_add_f16_e32 v16, v39, v16
	v_fma_f16 v13, v40, -0.5, v13
	v_sub_f16_e32 v45, v34, v35
	v_sub_f16_e32 v46, v32, v36
	v_add_f16_e32 v37, v37, v38
	v_add_f16_e32 v38, v41, v15
	v_fma_f16 v15, v44, -0.5, v33
	v_fma_f16 v41, v30, s15, v29
	v_add_f16_e32 v16, v16, v17
	v_fma_f16 v17, v30, s5, v29
	v_fma_f16 v29, v31, s15, v13
	v_fma_f16 v13, v31, s5, v13
	v_add_f16_e32 v39, v45, v46
	v_fma_f16 v44, v42, s15, v15
	v_fma_f16 v45, v42, s5, v15
	;; [unrolled: 4-line block ×3, first 2 shown]
	v_fma_f16 v16, v37, s14, v17
	v_fma_f16 v17, v38, s14, v18
	;; [unrolled: 1-line block ×3, first 2 shown]
	v_add_f16_e32 v29, v33, v34
	v_add_f16_e32 v47, v34, v32
	;; [unrolled: 1-line block ×3, first 2 shown]
	v_fma_f16 v40, v47, -0.5, v33
	v_add_f16_e32 v29, v29, v36
	v_add_f16_e32 v29, v29, v32
	v_sub_f16_e32 v33, v35, v34
	v_fma_f16 v34, v43, s5, v40
	v_sub_f16_e32 v32, v36, v32
	v_fma_f16 v34, v42, s16, v34
	v_add_f16_e32 v32, v33, v32
	v_fma_f16 v33, v32, s14, v34
	v_fma_f16 v34, v43, s15, v40
	;; [unrolled: 1-line block ×6, first 2 shown]
	v_pack_b32_f16 v34, v15, v29
	v_fma_f16 v41, v31, s16, v41
	v_fma_f16 v31, v43, s4, v45
	ds_write_b32 v20, v34
	v_pack_b32_f16 v34, v16, v30
	v_fma_f16 v13, v37, s14, v41
	v_fma_f16 v31, v39, s14, v31
	ds_write_b32 v20, v34 offset:420
	v_pack_b32_f16 v35, v17, v33
	v_pack_b32_f16 v36, v18, v32
	v_add_u32_e32 v34, 0x200, v20
	ds_write2_b32 v34, v35, v36 offset0:82 offset1:187
	v_pack_b32_f16 v35, v13, v31
	ds_write_b32 v20, v35 offset:1680
	s_waitcnt lgkmcnt(0)
	s_barrier
	s_and_saveexec_b64 s[2:3], vcc
	s_cbranch_execz .LBB0_13
; %bb.12:
	global_load_dword v35, v20, s[12:13] offset:2100
	s_add_u32 s4, s12, 0x834
	s_addc_u32 s5, s13, 0
	global_load_dword v41, v20, s[4:5] offset:300
	global_load_dword v42, v20, s[4:5] offset:600
	;; [unrolled: 1-line block ×6, first 2 shown]
	ds_read_b32 v36, v20
	s_waitcnt lgkmcnt(0)
	v_lshrrev_b32_e32 v37, 16, v36
	s_waitcnt vmcnt(6)
	v_mul_f16_sdwa v38, v37, v35 dst_sel:DWORD dst_unused:UNUSED_PAD src0_sel:DWORD src1_sel:WORD_1
	v_mul_f16_sdwa v39, v36, v35 dst_sel:DWORD dst_unused:UNUSED_PAD src0_sel:DWORD src1_sel:WORD_1
	v_fma_f16 v36, v36, v35, -v38
	v_fma_f16 v35, v37, v35, v39
	v_pack_b32_f16 v35, v36, v35
	ds_write_b32 v20, v35
	ds_read2_b32 v[35:36], v20 offset0:75 offset1:150
	ds_read2_b32 v[37:38], v34 offset0:97 offset1:172
	;; [unrolled: 1-line block ×3, first 2 shown]
	s_waitcnt lgkmcnt(2)
	v_lshrrev_b32_e32 v47, 16, v35
	s_waitcnt vmcnt(5)
	v_mul_f16_sdwa v48, v35, v41 dst_sel:DWORD dst_unused:UNUSED_PAD src0_sel:DWORD src1_sel:WORD_1
	v_lshrrev_b32_e32 v49, 16, v36
	s_waitcnt vmcnt(4)
	v_mul_f16_sdwa v50, v36, v42 dst_sel:DWORD dst_unused:UNUSED_PAD src0_sel:DWORD src1_sel:WORD_1
	s_waitcnt lgkmcnt(1)
	v_lshrrev_b32_e32 v51, 16, v37
	s_waitcnt vmcnt(3)
	v_mul_f16_sdwa v52, v37, v43 dst_sel:DWORD dst_unused:UNUSED_PAD src0_sel:DWORD src1_sel:WORD_1
	v_lshrrev_b32_e32 v53, 16, v38
	s_waitcnt vmcnt(2)
	v_mul_f16_sdwa v54, v38, v44 dst_sel:DWORD dst_unused:UNUSED_PAD src0_sel:DWORD src1_sel:WORD_1
	s_waitcnt lgkmcnt(0)
	v_lshrrev_b32_e32 v55, 16, v39
	s_waitcnt vmcnt(1)
	v_mul_f16_sdwa v56, v39, v45 dst_sel:DWORD dst_unused:UNUSED_PAD src0_sel:DWORD src1_sel:WORD_1
	v_lshrrev_b32_e32 v57, 16, v40
	v_mul_f16_sdwa v59, v47, v41 dst_sel:DWORD dst_unused:UNUSED_PAD src0_sel:DWORD src1_sel:WORD_1
	v_fma_f16 v47, v47, v41, v48
	v_mul_f16_sdwa v48, v49, v42 dst_sel:DWORD dst_unused:UNUSED_PAD src0_sel:DWORD src1_sel:WORD_1
	s_waitcnt vmcnt(0)
	v_mul_f16_sdwa v58, v40, v46 dst_sel:DWORD dst_unused:UNUSED_PAD src0_sel:DWORD src1_sel:WORD_1
	v_fma_f16 v49, v49, v42, v50
	v_mul_f16_sdwa v50, v51, v43 dst_sel:DWORD dst_unused:UNUSED_PAD src0_sel:DWORD src1_sel:WORD_1
	v_fma_f16 v51, v51, v43, v52
	;; [unrolled: 2-line block ×4, first 2 shown]
	v_mul_f16_sdwa v56, v57, v46 dst_sel:DWORD dst_unused:UNUSED_PAD src0_sel:DWORD src1_sel:WORD_1
	v_fma_f16 v35, v35, v41, -v59
	v_fma_f16 v36, v36, v42, -v48
	v_fma_f16 v57, v57, v46, v58
	v_fma_f16 v37, v37, v43, -v50
	v_fma_f16 v38, v38, v44, -v52
	;; [unrolled: 1-line block ×4, first 2 shown]
	v_pack_b32_f16 v35, v35, v47
	v_pack_b32_f16 v36, v36, v49
	;; [unrolled: 1-line block ×6, first 2 shown]
	ds_write2_b32 v20, v35, v36 offset0:75 offset1:150
	ds_write2_b32 v34, v37, v38 offset0:97 offset1:172
	;; [unrolled: 1-line block ×3, first 2 shown]
.LBB0_13:
	s_or_b64 exec, exec, s[2:3]
	s_waitcnt lgkmcnt(0)
	s_barrier
	s_and_saveexec_b64 s[2:3], vcc
	s_cbranch_execz .LBB0_15
; %bb.14:
	v_add_u32_e32 v13, 0x400, v20
	ds_read2_b32 v[15:16], v20 offset1:75
	ds_read2_b32 v[17:18], v20 offset0:150 offset1:225
	ds_read2_b32 v[13:14], v13 offset0:44 offset1:119
	ds_read_b32 v25, v20 offset:1800
	s_waitcnt lgkmcnt(3)
	v_lshrrev_b32_e32 v29, 16, v15
	v_lshrrev_b32_e32 v30, 16, v16
	s_waitcnt lgkmcnt(2)
	v_lshrrev_b32_e32 v33, 16, v17
	v_lshrrev_b32_e32 v32, 16, v18
	;; [unrolled: 3-line block ×3, first 2 shown]
.LBB0_15:
	s_or_b64 exec, exec, s[2:3]
	s_waitcnt lgkmcnt(0)
	v_add_f16_e32 v28, v25, v16
	v_add_f16_sdwa v34, v25, v30 dst_sel:DWORD dst_unused:UNUSED_PAD src0_sel:WORD_1 src1_sel:DWORD
	v_sub_f16_e32 v16, v16, v25
	v_sub_f16_sdwa v25, v30, v25 dst_sel:DWORD dst_unused:UNUSED_PAD src0_sel:DWORD src1_sel:WORD_1
	v_add_f16_e32 v30, v14, v17
	v_add_f16_e32 v35, v27, v33
	v_sub_f16_e32 v14, v17, v14
	v_sub_f16_e32 v17, v33, v27
	v_add_f16_e32 v27, v18, v13
	v_add_f16_e32 v33, v32, v31
	v_sub_f16_e32 v13, v13, v18
	v_sub_f16_e32 v18, v31, v32
	;; [unrolled: 4-line block ×3, first 2 shown]
	v_sub_f16_e32 v36, v28, v27
	v_sub_f16_e32 v37, v34, v33
	;; [unrolled: 1-line block ×4, first 2 shown]
	v_add_f16_e32 v34, v13, v14
	v_add_f16_e32 v35, v18, v17
	v_sub_f16_e32 v42, v13, v14
	v_sub_f16_e32 v43, v18, v17
	;; [unrolled: 1-line block ×6, first 2 shown]
	v_add_f16_e32 v17, v27, v31
	v_add_f16_e32 v18, v33, v32
	;; [unrolled: 1-line block ×5, first 2 shown]
	s_mov_b32 s4, 0xbcab
	v_mul_f16_e32 v29, 0x3a52, v36
	v_mul_f16_e32 v32, 0x3a52, v37
	;; [unrolled: 1-line block ×6, first 2 shown]
	s_mov_b32 s3, 0xbb00
	v_fma_f16 v38, v17, s4, v15
	v_fma_f16 v39, v18, s4, v16
	s_movk_i32 s4, 0x39e0
	v_add_f16_e32 v35, v35, v25
	v_mul_f16_e32 v25, 0xbb00, v13
	v_mul_f16_e32 v27, 0xbb00, v14
	v_fma_f16 v17, v40, s4, -v31
	v_fma_f16 v18, v41, s4, -v36
	s_mov_b32 s4, 0xb9e0
	v_fma_f16 v13, v13, s3, -v37
	v_fma_f16 v14, v14, s3, -v33
	s_movk_i32 s3, 0x3574
	s_mov_b32 s2, 0xb70e
	v_fma_f16 v40, v40, s4, -v29
	v_fma_f16 v41, v41, s4, -v32
	;; [unrolled: 1-line block ×4, first 2 shown]
	v_add_f16_e32 v44, v17, v38
	v_add_f16_e32 v45, v18, v39
	v_add_f16_e32 v40, v40, v38
	v_add_f16_e32 v41, v41, v39
	v_fma_f16 v46, v34, s2, v13
	v_fma_f16 v13, v35, s2, v14
	v_fma_f16 v42, v34, s2, v25
	v_fma_f16 v43, v35, s2, v27
	v_sub_f16_e32 v17, v44, v13
	v_add_f16_e32 v18, v46, v45
	v_add_f16_e32 v13, v13, v44
	v_sub_f16_e32 v25, v45, v46
	v_sub_f16_e32 v14, v40, v43
	v_add_f16_e32 v27, v42, v41
	s_barrier
	s_and_saveexec_b64 s[2:3], vcc
	s_cbranch_execz .LBB0_17
; %bb.16:
	v_mul_f16_e32 v28, 0xb574, v28
	v_mul_f16_e32 v30, 0xb574, v30
	;; [unrolled: 1-line block ×4, first 2 shown]
	v_add_f16_e32 v28, v37, v28
	v_add_f16_e32 v32, v36, v32
	;; [unrolled: 1-line block ×9, first 2 shown]
	v_sub_f16_e32 v31, v29, v30
	v_sub_f16_e32 v28, v32, v28
	v_add_f16_e32 v29, v29, v30
	s_mov_b32 s4, 0x5040100
	v_sub_f16_e32 v33, v41, v42
	v_add_f16_e32 v35, v43, v40
	v_lshlrev_b32_e32 v23, 2, v23
	v_pack_b32_f16 v28, v29, v28
	v_perm_b32 v15, v16, v15, s4
	ds_write2_b32 v23, v15, v28 offset1:1
	v_perm_b32 v15, v18, v17, s4
	v_pack_b32_f16 v16, v35, v33
	ds_write2_b32 v23, v16, v15 offset0:2 offset1:3
	v_perm_b32 v15, v27, v14, s4
	v_perm_b32 v16, v25, v13, s4
	ds_write2_b32 v23, v16, v15 offset0:4 offset1:5
	v_pack_b32_f16 v15, v31, v34
	ds_write_b32 v23, v15 offset:24
.LBB0_17:
	s_or_b64 exec, exec, s[2:3]
	s_waitcnt lgkmcnt(0)
	s_barrier
	ds_read2_b32 v[15:16], v20 offset1:175
	ds_read_b32 v23, v20 offset:1400
	s_and_saveexec_b64 s[2:3], s[0:1]
	s_cbranch_execz .LBB0_19
; %bb.18:
	v_add_u32_e32 v13, 0x400, v20
	ds_read_b32 v17, v20 offset:420
	ds_read2_b32 v[13:14], v13 offset0:24 offset1:199
	s_waitcnt lgkmcnt(1)
	v_lshrrev_b32_e32 v18, 16, v17
	s_waitcnt lgkmcnt(0)
	v_lshrrev_b32_e32 v25, 16, v13
	v_lshrrev_b32_e32 v27, 16, v14
.LBB0_19:
	s_or_b64 exec, exec, s[2:3]
	s_waitcnt lgkmcnt(1)
	v_lshrrev_b32_e32 v29, 16, v16
	v_mul_f16_sdwa v31, v11, v29 dst_sel:DWORD dst_unused:UNUSED_PAD src0_sel:WORD_1 src1_sel:DWORD
	s_waitcnt lgkmcnt(0)
	v_lshrrev_b32_e32 v30, 16, v23
	v_fma_f16 v31, v11, v16, v31
	v_mul_f16_sdwa v16, v11, v16 dst_sel:DWORD dst_unused:UNUSED_PAD src0_sel:WORD_1 src1_sel:DWORD
	v_fma_f16 v11, v11, v29, -v16
	v_mul_f16_sdwa v16, v12, v30 dst_sel:DWORD dst_unused:UNUSED_PAD src0_sel:WORD_1 src1_sel:DWORD
	v_fma_f16 v16, v12, v23, v16
	v_mul_f16_sdwa v23, v12, v23 dst_sel:DWORD dst_unused:UNUSED_PAD src0_sel:WORD_1 src1_sel:DWORD
	v_fma_f16 v12, v12, v30, -v23
	v_add_f16_e32 v29, v31, v16
	v_lshrrev_b32_e32 v28, 16, v15
	v_add_f16_e32 v23, v15, v31
	v_fma_f16 v15, v29, -0.5, v15
	v_sub_f16_e32 v29, v11, v12
	s_mov_b32 s5, 0xbaee
	s_movk_i32 s4, 0x3aee
	v_fma_f16 v30, v29, s5, v15
	v_fma_f16 v15, v29, s4, v15
	v_add_f16_e32 v29, v28, v11
	v_add_f16_e32 v11, v11, v12
	;; [unrolled: 1-line block ×3, first 2 shown]
	v_fma_f16 v11, v11, -0.5, v28
	v_sub_f16_e32 v12, v31, v16
	v_add_f16_e32 v23, v23, v16
	v_fma_f16 v16, v12, s4, v11
	v_fma_f16 v11, v12, s5, v11
	v_pack_b32_f16 v12, v23, v29
	v_pack_b32_f16 v16, v30, v16
	;; [unrolled: 1-line block ×3, first 2 shown]
	s_barrier
	ds_write2_b32 v24, v12, v16 offset1:7
	ds_write_b32 v24, v11 offset:56
	s_and_saveexec_b64 s[2:3], s[0:1]
	s_cbranch_execz .LBB0_21
; %bb.20:
	v_mul_f16_sdwa v11, v9, v25 dst_sel:DWORD dst_unused:UNUSED_PAD src0_sel:WORD_1 src1_sel:DWORD
	v_fma_f16 v11, v9, v13, v11
	v_mul_f16_sdwa v13, v9, v13 dst_sel:DWORD dst_unused:UNUSED_PAD src0_sel:WORD_1 src1_sel:DWORD
	v_mul_f16_sdwa v12, v10, v27 dst_sel:DWORD dst_unused:UNUSED_PAD src0_sel:WORD_1 src1_sel:DWORD
	v_fma_f16 v9, v9, v25, -v13
	v_mul_f16_sdwa v13, v10, v14 dst_sel:DWORD dst_unused:UNUSED_PAD src0_sel:WORD_1 src1_sel:DWORD
	v_fma_f16 v12, v10, v14, v12
	v_fma_f16 v10, v10, v27, -v13
	v_add_f16_e32 v13, v10, v9
	v_add_f16_e32 v16, v12, v11
	v_sub_f16_e32 v15, v11, v12
	v_fma_f16 v13, v13, -0.5, v18
	v_fma_f16 v16, v16, -0.5, v17
	v_sub_f16_e32 v23, v9, v10
	v_add_f16_e32 v9, v18, v9
	v_add_f16_e32 v11, v17, v11
	v_fma_f16 v14, v15, s4, v13
	v_fma_f16 v24, v23, s5, v16
	v_add_f16_e32 v9, v10, v9
	v_add_f16_e32 v11, v12, v11
	v_mul_u32_u24_e32 v12, 21, v21
	v_fma_f16 v13, v15, s5, v13
	v_fma_f16 v10, v23, s4, v16
	v_add_lshl_u32 v12, v12, v22, 2
	v_pack_b32_f16 v9, v11, v9
	v_pack_b32_f16 v11, v24, v14
	ds_write2_b32 v12, v9, v11 offset1:7
	v_pack_b32_f16 v9, v10, v13
	ds_write_b32 v12, v9 offset:56
.LBB0_21:
	s_or_b64 exec, exec, s[2:3]
	s_waitcnt lgkmcnt(0)
	s_barrier
	ds_read_b32 v14, v20
	ds_read2_b32 v[10:11], v20 offset0:105 offset1:210
	v_add_u32_e32 v9, 0x400, v20
	ds_read2_b32 v[12:13], v9 offset0:59 offset1:164
	s_mov_b32 s0, 0xbb9c
	s_movk_i32 s3, 0x3b9c
	s_waitcnt lgkmcnt(1)
	v_lshrrev_b32_e32 v16, 16, v10
	v_mul_f16_sdwa v22, v0, v16 dst_sel:DWORD dst_unused:UNUSED_PAD src0_sel:WORD_1 src1_sel:DWORD
	v_lshrrev_b32_e32 v17, 16, v11
	v_fma_f16 v22, v0, v10, v22
	v_mul_f16_sdwa v10, v0, v10 dst_sel:DWORD dst_unused:UNUSED_PAD src0_sel:WORD_1 src1_sel:DWORD
	v_fma_f16 v0, v0, v16, -v10
	v_mul_f16_sdwa v10, v1, v17 dst_sel:DWORD dst_unused:UNUSED_PAD src0_sel:WORD_1 src1_sel:DWORD
	s_waitcnt lgkmcnt(0)
	v_lshrrev_b32_e32 v18, 16, v12
	v_fma_f16 v10, v1, v11, v10
	v_mul_f16_sdwa v11, v1, v11 dst_sel:DWORD dst_unused:UNUSED_PAD src0_sel:WORD_1 src1_sel:DWORD
	v_fma_f16 v1, v1, v17, -v11
	v_mul_f16_sdwa v11, v2, v18 dst_sel:DWORD dst_unused:UNUSED_PAD src0_sel:WORD_1 src1_sel:DWORD
	v_lshrrev_b32_e32 v21, 16, v13
	v_fma_f16 v11, v2, v12, v11
	v_mul_f16_sdwa v12, v2, v12 dst_sel:DWORD dst_unused:UNUSED_PAD src0_sel:WORD_1 src1_sel:DWORD
	v_fma_f16 v2, v2, v18, -v12
	v_mul_f16_sdwa v12, v3, v21 dst_sel:DWORD dst_unused:UNUSED_PAD src0_sel:WORD_1 src1_sel:DWORD
	v_fma_f16 v12, v3, v13, v12
	v_mul_f16_sdwa v13, v3, v13 dst_sel:DWORD dst_unused:UNUSED_PAD src0_sel:WORD_1 src1_sel:DWORD
	v_fma_f16 v3, v3, v21, -v13
	v_add_f16_e32 v16, v10, v11
	v_fma_f16 v16, v16, -0.5, v14
	v_sub_f16_e32 v17, v0, v3
	v_fma_f16 v18, v17, s0, v16
	v_sub_f16_e32 v21, v1, v2
	s_mov_b32 s1, 0xb8b4
	v_sub_f16_e32 v23, v22, v10
	v_sub_f16_e32 v24, v12, v11
	v_fma_f16 v16, v17, s3, v16
	s_movk_i32 s4, 0x38b4
	v_fma_f16 v18, v21, s1, v18
	v_add_f16_e32 v23, v23, v24
	s_movk_i32 s2, 0x34f2
	v_fma_f16 v16, v21, s4, v16
	v_add_f16_e32 v13, v14, v22
	v_fma_f16 v18, v23, s2, v18
	v_fma_f16 v16, v23, s2, v16
	v_add_f16_e32 v23, v22, v12
	v_lshrrev_b32_e32 v15, 16, v14
	v_add_f16_e32 v13, v13, v10
	v_fma_f16 v14, v23, -0.5, v14
	v_add_f16_e32 v13, v13, v11
	v_fma_f16 v23, v21, s3, v14
	v_fma_f16 v14, v21, s0, v14
	v_add_f16_e32 v21, v1, v2
	v_add_f16_e32 v13, v13, v12
	v_sub_f16_e32 v24, v10, v22
	v_sub_f16_e32 v25, v11, v12
	v_fma_f16 v21, v21, -0.5, v15
	v_sub_f16_e32 v12, v22, v12
	v_fma_f16 v23, v17, s1, v23
	v_add_f16_e32 v24, v24, v25
	v_fma_f16 v14, v17, s4, v14
	v_fma_f16 v22, v12, s3, v21
	v_sub_f16_e32 v10, v10, v11
	v_fma_f16 v23, v24, s2, v23
	v_fma_f16 v14, v24, s2, v14
	;; [unrolled: 1-line block ×3, first 2 shown]
	v_sub_f16_e32 v22, v0, v1
	v_sub_f16_e32 v24, v3, v2
	v_fma_f16 v21, v12, s0, v21
	v_add_f16_e32 v22, v22, v24
	v_fma_f16 v21, v10, s1, v21
	v_add_f16_e32 v17, v15, v0
	v_fma_f16 v11, v22, s2, v11
	v_fma_f16 v21, v22, s2, v21
	v_add_f16_e32 v22, v0, v3
	v_add_f16_e32 v17, v17, v1
	v_fma_f16 v15, v22, -0.5, v15
	v_add_f16_e32 v17, v17, v2
	v_fma_f16 v22, v10, s0, v15
	v_sub_f16_e32 v0, v1, v0
	v_sub_f16_e32 v1, v2, v3
	v_fma_f16 v2, v10, s3, v15
	v_fma_f16 v22, v12, s4, v22
	v_add_f16_e32 v0, v0, v1
	v_fma_f16 v2, v12, s1, v2
	v_fma_f16 v1, v0, s2, v22
	;; [unrolled: 1-line block ×3, first 2 shown]
	v_add_f16_e32 v17, v17, v3
	v_pack_b32_f16 v1, v23, v1
	v_pack_b32_f16 v0, v14, v0
	s_barrier
	v_pack_b32_f16 v2, v13, v17
	v_pack_b32_f16 v3, v18, v11
	ds_write2_b32 v26, v1, v0 offset0:42 offset1:63
	v_pack_b32_f16 v0, v16, v21
	ds_write2_b32 v26, v2, v3 offset1:21
	ds_write_b32 v26, v0 offset:336
	s_waitcnt lgkmcnt(0)
	s_barrier
	ds_read_b32 v10, v20
	ds_read2_b32 v[0:1], v20 offset0:105 offset1:210
	ds_read2_b32 v[2:3], v9 offset0:59 offset1:164
	s_waitcnt lgkmcnt(2)
	v_lshrrev_b32_e32 v11, 16, v10
	s_waitcnt lgkmcnt(1)
	v_lshrrev_b32_e32 v12, 16, v0
	v_mul_f16_sdwa v16, v4, v12 dst_sel:DWORD dst_unused:UNUSED_PAD src0_sel:WORD_1 src1_sel:DWORD
	v_lshrrev_b32_e32 v13, 16, v1
	v_fma_f16 v16, v4, v0, v16
	v_mul_f16_sdwa v0, v4, v0 dst_sel:DWORD dst_unused:UNUSED_PAD src0_sel:WORD_1 src1_sel:DWORD
	v_fma_f16 v0, v4, v12, -v0
	v_mul_f16_sdwa v4, v5, v13 dst_sel:DWORD dst_unused:UNUSED_PAD src0_sel:WORD_1 src1_sel:DWORD
	s_waitcnt lgkmcnt(0)
	v_lshrrev_b32_e32 v14, 16, v2
	v_fma_f16 v4, v5, v1, v4
	v_mul_f16_sdwa v1, v5, v1 dst_sel:DWORD dst_unused:UNUSED_PAD src0_sel:WORD_1 src1_sel:DWORD
	v_fma_f16 v1, v5, v13, -v1
	v_mul_f16_sdwa v5, v6, v14 dst_sel:DWORD dst_unused:UNUSED_PAD src0_sel:WORD_1 src1_sel:DWORD
	v_lshrrev_b32_e32 v15, 16, v3
	v_fma_f16 v5, v6, v2, v5
	v_mul_f16_sdwa v2, v6, v2 dst_sel:DWORD dst_unused:UNUSED_PAD src0_sel:WORD_1 src1_sel:DWORD
	v_fma_f16 v2, v6, v14, -v2
	v_mul_f16_sdwa v6, v7, v15 dst_sel:DWORD dst_unused:UNUSED_PAD src0_sel:WORD_1 src1_sel:DWORD
	v_fma_f16 v6, v7, v3, v6
	v_mul_f16_sdwa v3, v7, v3 dst_sel:DWORD dst_unused:UNUSED_PAD src0_sel:WORD_1 src1_sel:DWORD
	v_fma_f16 v3, v7, v15, -v3
	v_add_f16_e32 v12, v4, v5
	v_fma_f16 v12, v12, -0.5, v10
	v_sub_f16_e32 v13, v0, v3
	v_fma_f16 v14, v13, s0, v12
	v_sub_f16_e32 v15, v1, v2
	v_sub_f16_e32 v17, v16, v4
	;; [unrolled: 1-line block ×3, first 2 shown]
	v_fma_f16 v12, v13, s3, v12
	v_fma_f16 v14, v15, s1, v14
	v_add_f16_e32 v17, v17, v18
	v_fma_f16 v12, v15, s4, v12
	v_add_f16_e32 v7, v10, v16
	v_fma_f16 v14, v17, s2, v14
	v_fma_f16 v12, v17, s2, v12
	v_add_f16_e32 v17, v16, v6
	v_add_f16_e32 v7, v7, v4
	v_fma_f16 v10, v17, -0.5, v10
	v_add_f16_e32 v7, v7, v5
	v_fma_f16 v17, v15, s3, v10
	v_fma_f16 v10, v15, s0, v10
	v_add_f16_e32 v15, v1, v2
	v_add_f16_e32 v7, v7, v6
	v_sub_f16_e32 v18, v4, v16
	v_sub_f16_e32 v21, v5, v6
	v_fma_f16 v15, v15, -0.5, v11
	v_sub_f16_e32 v6, v16, v6
	v_fma_f16 v17, v13, s1, v17
	v_add_f16_e32 v18, v18, v21
	v_fma_f16 v10, v13, s4, v10
	v_fma_f16 v16, v6, s3, v15
	v_sub_f16_e32 v4, v4, v5
	v_fma_f16 v17, v18, s2, v17
	v_fma_f16 v10, v18, s2, v10
	;; [unrolled: 1-line block ×3, first 2 shown]
	v_sub_f16_e32 v16, v0, v1
	v_sub_f16_e32 v18, v3, v2
	v_fma_f16 v15, v6, s0, v15
	v_add_f16_e32 v16, v16, v18
	v_fma_f16 v15, v4, s1, v15
	v_add_f16_e32 v13, v11, v0
	v_fma_f16 v5, v16, s2, v5
	v_fma_f16 v15, v16, s2, v15
	v_add_f16_e32 v16, v0, v3
	v_add_f16_e32 v13, v13, v1
	v_fma_f16 v11, v16, -0.5, v11
	v_add_f16_e32 v13, v13, v2
	v_fma_f16 v16, v4, s0, v11
	v_sub_f16_e32 v0, v1, v0
	v_sub_f16_e32 v1, v2, v3
	v_fma_f16 v2, v4, s3, v11
	v_add_f16_e32 v13, v13, v3
	v_fma_f16 v16, v6, s4, v16
	v_add_f16_e32 v0, v0, v1
	v_fma_f16 v2, v6, s1, v2
	v_fma_f16 v1, v0, s2, v16
	;; [unrolled: 1-line block ×3, first 2 shown]
	v_pack_b32_f16 v2, v7, v13
	ds_write_b32 v20, v2
	v_pack_b32_f16 v2, v14, v5
	v_pack_b32_f16 v1, v17, v1
	v_pack_b32_f16 v0, v10, v0
	v_add_u32_e32 v5, 0x200, v20
	ds_write_b32 v20, v2 offset:420
	ds_write2_b32 v5, v1, v0 offset0:82 offset1:187
	v_pack_b32_f16 v0, v12, v15
	ds_write_b32 v20, v0 offset:1680
	s_waitcnt lgkmcnt(0)
	s_barrier
	s_and_b64 exec, exec, vcc
	s_cbranch_execz .LBB0_23
; %bb.22:
	global_load_dword v7, v20, s[12:13]
	global_load_dword v6, v20, s[12:13] offset:300
	ds_read_b32 v21, v20
	v_mad_u64_u32 v[15:16], s[0:1], s10, v8, 0
	v_mad_u64_u32 v[2:3], s[0:1], s8, v19, 0
	v_mov_b32_e32 v4, 0x7c00
	v_mad_u64_u32 v[16:17], s[0:1], s11, v8, v[16:17]
	s_waitcnt lgkmcnt(0)
	v_lshrrev_b32_e32 v8, 16, v21
	v_mad_u64_u32 v[17:18], s[0:1], s9, v19, v[3:4]
	s_mov_b32 s14, 0x859b8cec
	s_mov_b32 s15, 0x3f5f3526
	ds_read2_b32 v[0:1], v20 offset0:75 offset1:150
	s_movk_i32 s18, 0x1ff
	global_load_dword v10, v20, s[12:13] offset:600
	global_load_dword v12, v20, s[12:13] offset:900
	;; [unrolled: 1-line block ×5, first 2 shown]
	s_movk_i32 s17, 0xffe
	s_movk_i32 s16, 0x40f
	s_waitcnt lgkmcnt(0)
	v_lshrrev_b32_e32 v22, 16, v0
	s_mov_b32 s10, 0x8000
	v_lshlrev_b64 v[15:16], 2, v[15:16]
	s_waitcnt vmcnt(6)
	v_mul_f16_sdwa v3, v8, v7 dst_sel:DWORD dst_unused:UNUSED_PAD src0_sel:DWORD src1_sel:WORD_1
	v_fma_f16 v3, v21, v7, v3
	v_mul_f16_sdwa v18, v21, v7 dst_sel:DWORD dst_unused:UNUSED_PAD src0_sel:DWORD src1_sel:WORD_1
	v_cvt_f32_f16_e32 v3, v3
	v_fma_f16 v7, v7, v8, -v18
	v_cvt_f32_f16_e32 v18, v7
	v_cvt_f64_f32_e32 v[7:8], v3
	s_waitcnt vmcnt(5)
	v_mul_f16_sdwa v3, v22, v6 dst_sel:DWORD dst_unused:UNUSED_PAD src0_sel:DWORD src1_sel:WORD_1
	v_cvt_f64_f32_e32 v[18:19], v18
	v_fma_f16 v3, v0, v6, v3
	v_mul_f64 v[7:8], v[7:8], s[14:15]
	v_cvt_f32_f16_e32 v20, v3
	v_mul_f64 v[18:19], v[18:19], s[14:15]
	v_mov_b32_e32 v3, v17
	v_lshlrev_b64 v[2:3], 2, v[2:3]
	v_cvt_f64_f32_e32 v[20:21], v20
	v_mul_f16_sdwa v0, v0, v6 dst_sel:DWORD dst_unused:UNUSED_PAD src0_sel:DWORD src1_sel:WORD_1
	v_fma_f16 v0, v6, v22, -v0
	v_and_or_b32 v7, v8, s18, v7
	v_cmp_ne_u32_e32 vcc, 0, v7
	v_and_or_b32 v18, v19, s18, v18
	v_lshrrev_b32_e32 v17, 8, v8
	v_bfe_u32 v23, v8, 20, 11
	v_cndmask_b32_e64 v7, 0, 1, vcc
	v_cmp_ne_u32_e32 vcc, 0, v18
	v_lshrrev_b32_e32 v24, 8, v19
	v_bfe_u32 v25, v19, 20, 11
	v_sub_u32_e32 v26, 0x3f1, v23
	v_cndmask_b32_e64 v18, 0, 1, vcc
	v_and_or_b32 v7, v17, s17, v7
	v_sub_u32_e32 v27, 0x3f1, v25
	v_med3_i32 v17, v26, 0, 13
	v_and_or_b32 v18, v24, s17, v18
	v_or_b32_e32 v26, 0x1000, v7
	v_add_u32_e32 v23, 0xfffffc10, v23
	v_med3_i32 v24, v27, 0, 13
	v_cmp_ne_u32_e32 vcc, 0, v7
	v_or_b32_e32 v28, 0x1000, v18
	v_lshrrev_b32_e32 v30, v17, v26
	v_add_u32_e32 v25, 0xfffffc10, v25
	v_lshl_or_b32 v27, v23, 12, v7
	v_cndmask_b32_e64 v7, 0, 1, vcc
	v_cmp_ne_u32_e32 vcc, 0, v18
	v_lshrrev_b32_e32 v31, v24, v28
	v_lshlrev_b32_e32 v17, v17, v30
	v_lshl_or_b32 v29, v25, 12, v18
	v_cndmask_b32_e64 v18, 0, 1, vcc
	v_lshlrev_b32_e32 v24, v24, v31
	v_cmp_ne_u32_e32 vcc, v17, v26
	v_cndmask_b32_e64 v17, 0, 1, vcc
	v_cmp_ne_u32_e32 vcc, v24, v28
	v_cndmask_b32_e64 v24, 0, 1, vcc
	v_or_b32_e32 v17, v30, v17
	v_cmp_gt_i32_e32 vcc, 1, v23
	v_cndmask_b32_e32 v17, v27, v17, vcc
	v_or_b32_e32 v24, v31, v24
	v_cmp_gt_i32_e32 vcc, 1, v25
	v_and_b32_e32 v26, 7, v17
	v_cndmask_b32_e32 v24, v29, v24, vcc
	v_cmp_lt_i32_e32 vcc, 5, v26
	v_cmp_eq_u32_e64 s[0:1], 3, v26
	v_lshrrev_b32_e32 v17, 2, v17
	v_and_b32_e32 v27, 7, v24
	s_or_b64 vcc, s[0:1], vcc
	v_cmp_lt_i32_e64 s[2:3], 5, v27
	v_cmp_eq_u32_e64 s[4:5], 3, v27
	v_addc_co_u32_e32 v17, vcc, 0, v17, vcc
	v_lshrrev_b32_e32 v24, 2, v24
	s_or_b64 vcc, s[4:5], s[2:3]
	v_addc_co_u32_e32 v24, vcc, 0, v24, vcc
	v_cmp_gt_i32_e32 vcc, 31, v23
	v_cndmask_b32_e32 v17, v4, v17, vcc
	v_cmp_gt_i32_e32 vcc, 31, v25
	v_lshl_or_b32 v7, v7, 9, v4
	v_cndmask_b32_e32 v24, v4, v24, vcc
	v_cmp_eq_u32_e32 vcc, s16, v23
	v_lshrrev_b32_e32 v8, 16, v8
	v_lshl_or_b32 v18, v18, 9, v4
	v_cndmask_b32_e32 v7, v17, v7, vcc
	v_cmp_eq_u32_e32 vcc, s16, v25
	v_lshrrev_b32_e32 v19, 16, v19
	v_cndmask_b32_e32 v17, v24, v18, vcc
	v_and_or_b32 v7, v8, s10, v7
	v_and_or_b32 v8, v19, s10, v17
	v_and_b32_e32 v7, 0xffff, v7
	v_lshl_or_b32 v17, v8, 16, v7
	v_mul_f64 v[7:8], v[20:21], s[14:15]
	v_mov_b32_e32 v18, s7
	v_add_co_u32_e32 v15, vcc, s6, v15
	v_addc_co_u32_e32 v16, vcc, v18, v16, vcc
	v_add_co_u32_e32 v2, vcc, v15, v2
	v_addc_co_u32_e32 v3, vcc, v16, v3, vcc
	v_and_or_b32 v7, v8, s18, v7
	v_cmp_ne_u32_e32 vcc, 0, v7
	v_cndmask_b32_e64 v7, 0, 1, vcc
	v_lshrrev_b32_e32 v15, 8, v8
	v_bfe_u32 v16, v8, 20, 11
	global_store_dword v[2:3], v17, off
	v_and_or_b32 v15, v15, s17, v7
	v_sub_u32_e32 v17, 0x3f1, v16
	v_or_b32_e32 v7, 0x1000, v15
	v_med3_i32 v17, v17, 0, 13
	v_lshrrev_b32_e32 v18, v17, v7
	v_lshlrev_b32_e32 v17, v17, v18
	v_cmp_ne_u32_e32 vcc, v17, v7
	v_cndmask_b32_e64 v7, 0, 1, vcc
	v_add_u32_e32 v16, 0xfffffc10, v16
	v_cvt_f32_f16_e32 v0, v0
	v_or_b32_e32 v7, v18, v7
	v_lshl_or_b32 v17, v16, 12, v15
	v_cmp_gt_i32_e32 vcc, 1, v16
	v_cndmask_b32_e32 v7, v17, v7, vcc
	v_and_b32_e32 v17, 7, v7
	v_cmp_lt_i32_e32 vcc, 5, v17
	v_cmp_eq_u32_e64 s[0:1], 3, v17
	v_lshrrev_b32_e32 v17, 2, v7
	v_cvt_f64_f32_e32 v[6:7], v0
	s_or_b64 vcc, s[0:1], vcc
	v_addc_co_u32_e32 v0, vcc, 0, v17, vcc
	v_mul_f64 v[6:7], v[6:7], s[14:15]
	v_cmp_gt_i32_e32 vcc, 31, v16
	v_cndmask_b32_e32 v0, v4, v0, vcc
	v_cmp_ne_u32_e32 vcc, 0, v15
	v_cndmask_b32_e64 v15, 0, 1, vcc
	v_lshl_or_b32 v15, v15, 9, v4
	v_cmp_eq_u32_e32 vcc, s16, v16
	v_cndmask_b32_e32 v0, v0, v15, vcc
	v_and_or_b32 v6, v7, s18, v6
	v_lshrrev_b32_e32 v8, 16, v8
	v_cmp_ne_u32_e32 vcc, 0, v6
	v_and_or_b32 v0, v8, s10, v0
	v_cndmask_b32_e64 v6, 0, 1, vcc
	v_lshrrev_b32_e32 v8, 8, v7
	v_bfe_u32 v15, v7, 20, 11
	v_and_or_b32 v6, v8, s17, v6
	v_sub_u32_e32 v16, 0x3f1, v15
	v_or_b32_e32 v8, 0x1000, v6
	v_med3_i32 v16, v16, 0, 13
	v_lshrrev_b32_e32 v17, v16, v8
	v_lshlrev_b32_e32 v16, v16, v17
	v_cmp_ne_u32_e32 vcc, v16, v8
	v_cndmask_b32_e64 v8, 0, 1, vcc
	v_add_u32_e32 v15, 0xfffffc10, v15
	v_or_b32_e32 v8, v17, v8
	v_lshl_or_b32 v16, v15, 12, v6
	v_cmp_gt_i32_e32 vcc, 1, v15
	v_cndmask_b32_e32 v8, v16, v8, vcc
	v_and_b32_e32 v16, 7, v8
	v_cmp_lt_i32_e32 vcc, 5, v16
	v_cmp_eq_u32_e64 s[0:1], 3, v16
	v_lshrrev_b32_e32 v8, 2, v8
	s_or_b64 vcc, s[0:1], vcc
	v_addc_co_u32_e32 v8, vcc, 0, v8, vcc
	v_cmp_gt_i32_e32 vcc, 31, v15
	v_cndmask_b32_e32 v8, v4, v8, vcc
	v_cmp_ne_u32_e32 vcc, 0, v6
	v_cndmask_b32_e64 v6, 0, 1, vcc
	v_lshl_or_b32 v6, v6, 9, v4
	v_cmp_eq_u32_e32 vcc, s16, v15
	v_cndmask_b32_e32 v6, v8, v6, vcc
	v_lshrrev_b32_e32 v8, 16, v1
	s_waitcnt vmcnt(5)
	v_mul_f16_sdwa v15, v8, v10 dst_sel:DWORD dst_unused:UNUSED_PAD src0_sel:DWORD src1_sel:WORD_1
	v_fma_f16 v15, v1, v10, v15
	v_cvt_f32_f16_e32 v15, v15
	v_lshrrev_b32_e32 v7, 16, v7
	v_and_or_b32 v6, v7, s10, v6
	v_and_b32_e32 v0, 0xffff, v0
	v_lshl_or_b32 v0, v6, 16, v0
	v_cvt_f64_f32_e32 v[6:7], v15
	s_mul_i32 s0, s9, 0x12c
	s_mul_hi_u32 s2, s8, 0x12c
	s_add_i32 s2, s2, s0
	v_mul_f64 v[6:7], v[6:7], s[14:15]
	s_mul_i32 s3, s8, 0x12c
	v_mov_b32_e32 v15, s2
	v_add_co_u32_e32 v2, vcc, s3, v2
	v_addc_co_u32_e32 v3, vcc, v3, v15, vcc
	global_store_dword v[2:3], v0, off
	v_and_or_b32 v0, v7, s18, v6
	v_cmp_ne_u32_e32 vcc, 0, v0
	v_cndmask_b32_e64 v0, 0, 1, vcc
	v_lshrrev_b32_e32 v6, 8, v7
	v_bfe_u32 v15, v7, 20, 11
	v_and_or_b32 v6, v6, s17, v0
	v_sub_u32_e32 v16, 0x3f1, v15
	v_or_b32_e32 v0, 0x1000, v6
	v_med3_i32 v16, v16, 0, 13
	v_lshrrev_b32_e32 v17, v16, v0
	v_mul_f16_sdwa v1, v1, v10 dst_sel:DWORD dst_unused:UNUSED_PAD src0_sel:DWORD src1_sel:WORD_1
	v_lshlrev_b32_e32 v16, v16, v17
	v_fma_f16 v1, v10, v8, -v1
	v_cmp_ne_u32_e32 vcc, v16, v0
	v_cvt_f32_f16_e32 v1, v1
	v_cndmask_b32_e64 v0, 0, 1, vcc
	v_add_u32_e32 v15, 0xfffffc10, v15
	v_or_b32_e32 v0, v17, v0
	v_lshl_or_b32 v16, v15, 12, v6
	v_cmp_gt_i32_e32 vcc, 1, v15
	v_cndmask_b32_e32 v0, v16, v0, vcc
	v_and_b32_e32 v16, 7, v0
	v_lshrrev_b32_e32 v8, 2, v0
	v_cvt_f64_f32_e32 v[0:1], v1
	v_cmp_lt_i32_e32 vcc, 5, v16
	v_cmp_eq_u32_e64 s[0:1], 3, v16
	s_or_b64 vcc, s[0:1], vcc
	v_mul_f64 v[0:1], v[0:1], s[14:15]
	v_addc_co_u32_e32 v8, vcc, 0, v8, vcc
	v_cmp_gt_i32_e32 vcc, 31, v15
	v_cndmask_b32_e32 v8, v4, v8, vcc
	v_cmp_ne_u32_e32 vcc, 0, v6
	v_cndmask_b32_e64 v6, 0, 1, vcc
	v_lshl_or_b32 v6, v6, 9, v4
	v_cmp_eq_u32_e32 vcc, s16, v15
	v_and_or_b32 v0, v1, s18, v0
	v_cndmask_b32_e32 v6, v8, v6, vcc
	v_lshrrev_b32_e32 v7, 16, v7
	v_cmp_ne_u32_e32 vcc, 0, v0
	v_and_or_b32 v10, v7, s10, v6
	v_cndmask_b32_e64 v0, 0, 1, vcc
	v_lshrrev_b32_e32 v6, 8, v1
	v_bfe_u32 v7, v1, 20, 11
	v_and_or_b32 v0, v6, s17, v0
	v_sub_u32_e32 v8, 0x3f1, v7
	v_or_b32_e32 v6, 0x1000, v0
	v_med3_i32 v8, v8, 0, 13
	v_lshrrev_b32_e32 v15, v8, v6
	v_lshlrev_b32_e32 v8, v8, v15
	v_cmp_ne_u32_e32 vcc, v8, v6
	v_cndmask_b32_e64 v6, 0, 1, vcc
	v_add_u32_e32 v7, 0xfffffc10, v7
	v_or_b32_e32 v6, v15, v6
	v_lshl_or_b32 v8, v7, 12, v0
	v_cmp_gt_i32_e32 vcc, 1, v7
	v_cndmask_b32_e32 v6, v8, v6, vcc
	v_and_b32_e32 v8, 7, v6
	v_cmp_lt_i32_e32 vcc, 5, v8
	v_cmp_eq_u32_e64 s[0:1], 3, v8
	v_lshrrev_b32_e32 v6, 2, v6
	s_or_b64 vcc, s[0:1], vcc
	v_addc_co_u32_e32 v8, vcc, 0, v6, vcc
	ds_read2_b32 v[5:6], v5 offset0:97 offset1:172
	v_cmp_gt_i32_e32 vcc, 31, v7
	v_cndmask_b32_e32 v8, v4, v8, vcc
	v_cmp_ne_u32_e32 vcc, 0, v0
	v_cndmask_b32_e64 v0, 0, 1, vcc
	s_waitcnt lgkmcnt(0)
	v_lshrrev_b32_e32 v15, 16, v5
	s_waitcnt vmcnt(5)
	v_mul_f16_sdwa v16, v15, v12 dst_sel:DWORD dst_unused:UNUSED_PAD src0_sel:DWORD src1_sel:WORD_1
	v_fma_f16 v16, v5, v12, v16
	v_cvt_f32_f16_e32 v16, v16
	v_lshl_or_b32 v0, v0, 9, v4
	v_cmp_eq_u32_e32 vcc, s16, v7
	v_cndmask_b32_e32 v0, v8, v0, vcc
	v_cvt_f64_f32_e32 v[7:8], v16
	v_lshrrev_b32_e32 v1, 16, v1
	v_and_or_b32 v16, v1, s10, v0
	v_add_co_u32_e32 v2, vcc, s3, v2
	v_mul_f64 v[0:1], v[7:8], s[14:15]
	v_mov_b32_e32 v8, s2
	v_and_b32_e32 v10, 0xffff, v10
	v_addc_co_u32_e32 v3, vcc, v3, v8, vcc
	v_lshl_or_b32 v7, v16, 16, v10
	global_store_dword v[2:3], v7, off
	v_mul_f16_sdwa v5, v5, v12 dst_sel:DWORD dst_unused:UNUSED_PAD src0_sel:DWORD src1_sel:WORD_1
	v_and_or_b32 v0, v1, s18, v0
	v_cmp_ne_u32_e32 vcc, 0, v0
	v_cndmask_b32_e64 v0, 0, 1, vcc
	v_lshrrev_b32_e32 v7, 8, v1
	v_bfe_u32 v8, v1, 20, 11
	v_and_or_b32 v0, v7, s17, v0
	v_sub_u32_e32 v10, 0x3f1, v8
	v_or_b32_e32 v7, 0x1000, v0
	v_med3_i32 v10, v10, 0, 13
	v_lshrrev_b32_e32 v16, v10, v7
	v_lshlrev_b32_e32 v10, v10, v16
	v_cmp_ne_u32_e32 vcc, v10, v7
	v_fma_f16 v5, v12, v15, -v5
	v_cndmask_b32_e64 v7, 0, 1, vcc
	v_add_u32_e32 v10, 0xfffffc10, v8
	v_cvt_f32_f16_e32 v5, v5
	v_or_b32_e32 v7, v16, v7
	v_lshl_or_b32 v8, v10, 12, v0
	v_cmp_gt_i32_e32 vcc, 1, v10
	v_cndmask_b32_e32 v7, v8, v7, vcc
	v_and_b32_e32 v8, 7, v7
	v_cmp_lt_i32_e32 vcc, 5, v8
	v_cmp_eq_u32_e64 s[0:1], 3, v8
	v_lshrrev_b32_e32 v12, 2, v7
	v_cvt_f64_f32_e32 v[7:8], v5
	s_or_b64 vcc, s[0:1], vcc
	v_addc_co_u32_e32 v5, vcc, 0, v12, vcc
	v_mul_f64 v[7:8], v[7:8], s[14:15]
	v_cmp_gt_i32_e32 vcc, 31, v10
	v_cndmask_b32_e32 v5, v4, v5, vcc
	v_cmp_ne_u32_e32 vcc, 0, v0
	v_cndmask_b32_e64 v0, 0, 1, vcc
	v_lshl_or_b32 v0, v0, 9, v4
	v_cmp_eq_u32_e32 vcc, s16, v10
	v_cndmask_b32_e32 v0, v5, v0, vcc
	v_lshrrev_b32_e32 v1, 16, v1
	v_and_or_b32 v5, v1, s10, v0
	v_and_or_b32 v0, v8, s18, v7
	v_cmp_ne_u32_e32 vcc, 0, v0
	v_cndmask_b32_e64 v0, 0, 1, vcc
	v_lshrrev_b32_e32 v1, 8, v8
	v_bfe_u32 v7, v8, 20, 11
	v_and_or_b32 v0, v1, s17, v0
	v_sub_u32_e32 v10, 0x3f1, v7
	v_or_b32_e32 v1, 0x1000, v0
	v_med3_i32 v10, v10, 0, 13
	v_lshrrev_b32_e32 v12, v10, v1
	v_lshlrev_b32_e32 v10, v10, v12
	v_cmp_ne_u32_e32 vcc, v10, v1
	v_cndmask_b32_e64 v1, 0, 1, vcc
	v_add_u32_e32 v7, 0xfffffc10, v7
	v_or_b32_e32 v1, v12, v1
	v_lshl_or_b32 v10, v7, 12, v0
	v_cmp_gt_i32_e32 vcc, 1, v7
	v_cndmask_b32_e32 v1, v10, v1, vcc
	v_and_b32_e32 v10, 7, v1
	v_cmp_lt_i32_e32 vcc, 5, v10
	v_cmp_eq_u32_e64 s[0:1], 3, v10
	v_lshrrev_b32_e32 v10, 16, v6
	v_lshrrev_b32_e32 v1, 2, v1
	s_or_b64 vcc, s[0:1], vcc
	s_waitcnt vmcnt(5)
	v_mul_f16_sdwa v12, v10, v13 dst_sel:DWORD dst_unused:UNUSED_PAD src0_sel:DWORD src1_sel:WORD_1
	v_addc_co_u32_e32 v1, vcc, 0, v1, vcc
	v_fma_f16 v12, v6, v13, v12
	v_cmp_gt_i32_e32 vcc, 31, v7
	v_cvt_f32_f16_e32 v12, v12
	v_cndmask_b32_e32 v1, v4, v1, vcc
	v_cmp_ne_u32_e32 vcc, 0, v0
	v_cndmask_b32_e64 v0, 0, 1, vcc
	v_lshl_or_b32 v0, v0, 9, v4
	v_cmp_eq_u32_e32 vcc, s16, v7
	v_cndmask_b32_e32 v7, v1, v0, vcc
	v_cvt_f64_f32_e32 v[0:1], v12
	v_lshrrev_b32_e32 v8, 16, v8
	v_and_or_b32 v7, v8, s10, v7
	v_and_b32_e32 v5, 0xffff, v5
	v_mul_f64 v[0:1], v[0:1], s[14:15]
	v_lshl_or_b32 v5, v7, 16, v5
	v_mov_b32_e32 v7, s2
	v_add_co_u32_e32 v2, vcc, s3, v2
	v_addc_co_u32_e32 v3, vcc, v3, v7, vcc
	global_store_dword v[2:3], v5, off
	v_and_or_b32 v0, v1, s18, v0
	v_cmp_ne_u32_e32 vcc, 0, v0
	v_cndmask_b32_e64 v0, 0, 1, vcc
	v_lshrrev_b32_e32 v5, 8, v1
	v_bfe_u32 v7, v1, 20, 11
	v_and_or_b32 v0, v5, s17, v0
	v_sub_u32_e32 v8, 0x3f1, v7
	v_or_b32_e32 v5, 0x1000, v0
	v_med3_i32 v8, v8, 0, 13
	v_lshrrev_b32_e32 v12, v8, v5
	v_lshlrev_b32_e32 v8, v8, v12
	v_mul_f16_sdwa v6, v6, v13 dst_sel:DWORD dst_unused:UNUSED_PAD src0_sel:DWORD src1_sel:WORD_1
	v_cmp_ne_u32_e32 vcc, v8, v5
	v_fma_f16 v6, v13, v10, -v6
	v_cndmask_b32_e64 v5, 0, 1, vcc
	v_add_u32_e32 v7, 0xfffffc10, v7
	v_cvt_f32_f16_e32 v6, v6
	v_or_b32_e32 v5, v12, v5
	v_lshl_or_b32 v8, v7, 12, v0
	v_cmp_gt_i32_e32 vcc, 1, v7
	v_cndmask_b32_e32 v5, v8, v5, vcc
	v_and_b32_e32 v8, 7, v5
	v_cmp_lt_i32_e32 vcc, 5, v8
	v_cmp_eq_u32_e64 s[0:1], 3, v8
	v_lshrrev_b32_e32 v8, 2, v5
	v_cvt_f64_f32_e32 v[5:6], v6
	s_or_b64 vcc, s[0:1], vcc
	v_addc_co_u32_e32 v8, vcc, 0, v8, vcc
	v_mul_f64 v[5:6], v[5:6], s[14:15]
	v_cmp_gt_i32_e32 vcc, 31, v7
	v_cndmask_b32_e32 v8, v4, v8, vcc
	v_cmp_ne_u32_e32 vcc, 0, v0
	v_cndmask_b32_e64 v0, 0, 1, vcc
	v_lshl_or_b32 v0, v0, 9, v4
	v_cmp_eq_u32_e32 vcc, s16, v7
	v_cndmask_b32_e32 v0, v8, v0, vcc
	v_lshrrev_b32_e32 v1, 16, v1
	v_and_or_b32 v10, v1, s10, v0
	v_and_or_b32 v0, v6, s18, v5
	v_cmp_ne_u32_e32 vcc, 0, v0
	v_cndmask_b32_e64 v0, 0, 1, vcc
	v_lshrrev_b32_e32 v1, 8, v6
	v_and_or_b32 v5, v1, s17, v0
	v_bfe_u32 v1, v6, 20, 11
	v_sub_u32_e32 v7, 0x3f1, v1
	v_or_b32_e32 v0, 0x1000, v5
	v_med3_i32 v7, v7, 0, 13
	v_lshrrev_b32_e32 v8, v7, v0
	v_lshlrev_b32_e32 v7, v7, v8
	v_cmp_ne_u32_e32 vcc, v7, v0
	v_cndmask_b32_e64 v0, 0, 1, vcc
	v_add_u32_e32 v7, 0xfffffc10, v1
	v_or_b32_e32 v0, v8, v0
	v_lshl_or_b32 v1, v7, 12, v5
	v_cmp_gt_i32_e32 vcc, 1, v7
	v_cndmask_b32_e32 v0, v1, v0, vcc
	v_and_b32_e32 v1, 7, v0
	v_cmp_lt_i32_e32 vcc, 5, v1
	v_cmp_eq_u32_e64 s[0:1], 3, v1
	v_lshrrev_b32_e32 v0, 2, v0
	s_or_b64 vcc, s[0:1], vcc
	v_addc_co_u32_e32 v8, vcc, 0, v0, vcc
	ds_read2_b32 v[0:1], v9 offset0:119 offset1:194
	v_cmp_gt_i32_e32 vcc, 31, v7
	v_cndmask_b32_e32 v8, v4, v8, vcc
	v_cmp_ne_u32_e32 vcc, 0, v5
	v_cndmask_b32_e64 v5, 0, 1, vcc
	s_waitcnt lgkmcnt(0)
	v_lshrrev_b32_e32 v9, 16, v0
	s_waitcnt vmcnt(5)
	v_mul_f16_sdwa v12, v9, v14 dst_sel:DWORD dst_unused:UNUSED_PAD src0_sel:DWORD src1_sel:WORD_1
	v_fma_f16 v12, v0, v14, v12
	v_cvt_f32_f16_e32 v12, v12
	v_lshl_or_b32 v5, v5, 9, v4
	v_cmp_eq_u32_e32 vcc, s16, v7
	v_cndmask_b32_e32 v5, v8, v5, vcc
	v_cvt_f64_f32_e32 v[7:8], v12
	v_lshrrev_b32_e32 v6, 16, v6
	v_and_or_b32 v12, v6, s10, v5
	v_add_co_u32_e32 v2, vcc, s3, v2
	v_mul_f64 v[5:6], v[7:8], s[14:15]
	v_mov_b32_e32 v8, s2
	v_and_b32_e32 v10, 0xffff, v10
	v_addc_co_u32_e32 v3, vcc, v3, v8, vcc
	v_lshl_or_b32 v7, v12, 16, v10
	global_store_dword v[2:3], v7, off
	v_mul_f16_sdwa v0, v0, v14 dst_sel:DWORD dst_unused:UNUSED_PAD src0_sel:DWORD src1_sel:WORD_1
	v_and_or_b32 v5, v6, s18, v5
	v_cmp_ne_u32_e32 vcc, 0, v5
	v_cndmask_b32_e64 v5, 0, 1, vcc
	v_lshrrev_b32_e32 v7, 8, v6
	v_bfe_u32 v8, v6, 20, 11
	v_and_or_b32 v5, v7, s17, v5
	v_sub_u32_e32 v10, 0x3f1, v8
	v_or_b32_e32 v7, 0x1000, v5
	v_med3_i32 v10, v10, 0, 13
	v_lshrrev_b32_e32 v12, v10, v7
	v_lshlrev_b32_e32 v10, v10, v12
	v_cmp_ne_u32_e32 vcc, v10, v7
	v_fma_f16 v0, v14, v9, -v0
	v_cndmask_b32_e64 v7, 0, 1, vcc
	v_add_u32_e32 v10, 0xfffffc10, v8
	v_cvt_f32_f16_e32 v0, v0
	v_or_b32_e32 v7, v12, v7
	v_lshl_or_b32 v8, v10, 12, v5
	v_cmp_gt_i32_e32 vcc, 1, v10
	v_cndmask_b32_e32 v7, v8, v7, vcc
	v_and_b32_e32 v8, 7, v7
	v_cmp_lt_i32_e32 vcc, 5, v8
	v_cmp_eq_u32_e64 s[0:1], 3, v8
	v_lshrrev_b32_e32 v9, 2, v7
	v_cvt_f64_f32_e32 v[7:8], v0
	s_or_b64 vcc, s[0:1], vcc
	v_addc_co_u32_e32 v0, vcc, 0, v9, vcc
	v_mul_f64 v[7:8], v[7:8], s[14:15]
	v_cmp_gt_i32_e32 vcc, 31, v10
	v_cndmask_b32_e32 v0, v4, v0, vcc
	v_cmp_ne_u32_e32 vcc, 0, v5
	v_cndmask_b32_e64 v5, 0, 1, vcc
	v_lshl_or_b32 v5, v5, 9, v4
	v_cmp_eq_u32_e32 vcc, s16, v10
	v_cndmask_b32_e32 v0, v0, v5, vcc
	v_lshrrev_b32_e32 v5, 16, v6
	v_and_or_b32 v0, v5, s10, v0
	v_and_or_b32 v5, v8, s18, v7
	v_cmp_ne_u32_e32 vcc, 0, v5
	v_cndmask_b32_e64 v5, 0, 1, vcc
	v_lshrrev_b32_e32 v6, 8, v8
	v_bfe_u32 v7, v8, 20, 11
	v_and_or_b32 v5, v6, s17, v5
	v_sub_u32_e32 v9, 0x3f1, v7
	v_or_b32_e32 v6, 0x1000, v5
	v_med3_i32 v9, v9, 0, 13
	v_lshrrev_b32_e32 v10, v9, v6
	v_lshlrev_b32_e32 v9, v9, v10
	v_cmp_ne_u32_e32 vcc, v9, v6
	v_cndmask_b32_e64 v6, 0, 1, vcc
	v_add_u32_e32 v7, 0xfffffc10, v7
	v_or_b32_e32 v6, v10, v6
	v_lshl_or_b32 v9, v7, 12, v5
	v_cmp_gt_i32_e32 vcc, 1, v7
	v_cndmask_b32_e32 v6, v9, v6, vcc
	v_and_b32_e32 v9, 7, v6
	v_cmp_lt_i32_e32 vcc, 5, v9
	v_cmp_eq_u32_e64 s[0:1], 3, v9
	v_lshrrev_b32_e32 v9, 16, v1
	v_lshrrev_b32_e32 v6, 2, v6
	s_or_b64 vcc, s[0:1], vcc
	s_waitcnt vmcnt(5)
	v_mul_f16_sdwa v10, v9, v11 dst_sel:DWORD dst_unused:UNUSED_PAD src0_sel:DWORD src1_sel:WORD_1
	v_addc_co_u32_e32 v6, vcc, 0, v6, vcc
	v_fma_f16 v10, v1, v11, v10
	v_cmp_gt_i32_e32 vcc, 31, v7
	v_cvt_f32_f16_e32 v10, v10
	v_cndmask_b32_e32 v6, v4, v6, vcc
	v_cmp_ne_u32_e32 vcc, 0, v5
	v_cndmask_b32_e64 v5, 0, 1, vcc
	v_lshl_or_b32 v5, v5, 9, v4
	v_cmp_eq_u32_e32 vcc, s16, v7
	v_cndmask_b32_e32 v7, v6, v5, vcc
	v_cvt_f64_f32_e32 v[5:6], v10
	v_lshrrev_b32_e32 v8, 16, v8
	v_and_or_b32 v7, v8, s10, v7
	v_and_b32_e32 v0, 0xffff, v0
	v_mul_f64 v[5:6], v[5:6], s[14:15]
	v_lshl_or_b32 v0, v7, 16, v0
	v_mov_b32_e32 v7, s2
	v_add_co_u32_e32 v2, vcc, s3, v2
	v_addc_co_u32_e32 v3, vcc, v3, v7, vcc
	global_store_dword v[2:3], v0, off
	v_and_or_b32 v0, v6, s18, v5
	v_cmp_ne_u32_e32 vcc, 0, v0
	v_cndmask_b32_e64 v0, 0, 1, vcc
	v_lshrrev_b32_e32 v5, 8, v6
	v_bfe_u32 v7, v6, 20, 11
	v_and_or_b32 v5, v5, s17, v0
	v_sub_u32_e32 v8, 0x3f1, v7
	v_or_b32_e32 v0, 0x1000, v5
	v_med3_i32 v8, v8, 0, 13
	v_lshrrev_b32_e32 v10, v8, v0
	v_lshlrev_b32_e32 v8, v8, v10
	v_mul_f16_sdwa v1, v1, v11 dst_sel:DWORD dst_unused:UNUSED_PAD src0_sel:DWORD src1_sel:WORD_1
	v_cmp_ne_u32_e32 vcc, v8, v0
	v_fma_f16 v1, v11, v9, -v1
	v_cndmask_b32_e64 v0, 0, 1, vcc
	v_add_u32_e32 v7, 0xfffffc10, v7
	v_cvt_f32_f16_e32 v1, v1
	v_or_b32_e32 v0, v10, v0
	v_lshl_or_b32 v8, v7, 12, v5
	v_cmp_gt_i32_e32 vcc, 1, v7
	v_cndmask_b32_e32 v0, v8, v0, vcc
	v_and_b32_e32 v8, 7, v0
	v_cmp_lt_i32_e32 vcc, 5, v8
	v_cmp_eq_u32_e64 s[0:1], 3, v8
	v_lshrrev_b32_e32 v8, 2, v0
	v_cvt_f64_f32_e32 v[0:1], v1
	s_or_b64 vcc, s[0:1], vcc
	v_addc_co_u32_e32 v8, vcc, 0, v8, vcc
	v_mul_f64 v[0:1], v[0:1], s[14:15]
	v_cmp_gt_i32_e32 vcc, 31, v7
	v_cndmask_b32_e32 v8, v4, v8, vcc
	v_cmp_ne_u32_e32 vcc, 0, v5
	v_cndmask_b32_e64 v5, 0, 1, vcc
	v_lshl_or_b32 v5, v5, 9, v4
	v_cmp_eq_u32_e32 vcc, s16, v7
	v_cndmask_b32_e32 v5, v8, v5, vcc
	v_and_or_b32 v0, v1, s18, v0
	v_lshrrev_b32_e32 v6, 16, v6
	v_cmp_ne_u32_e32 vcc, 0, v0
	v_and_or_b32 v5, v6, s10, v5
	v_cndmask_b32_e64 v0, 0, 1, vcc
	v_lshrrev_b32_e32 v6, 8, v1
	v_bfe_u32 v7, v1, 20, 11
	v_and_or_b32 v0, v6, s17, v0
	v_sub_u32_e32 v8, 0x3f1, v7
	v_or_b32_e32 v6, 0x1000, v0
	v_med3_i32 v8, v8, 0, 13
	v_lshrrev_b32_e32 v9, v8, v6
	v_lshlrev_b32_e32 v8, v8, v9
	v_cmp_ne_u32_e32 vcc, v8, v6
	v_cndmask_b32_e64 v6, 0, 1, vcc
	v_add_u32_e32 v7, 0xfffffc10, v7
	v_or_b32_e32 v6, v9, v6
	v_lshl_or_b32 v8, v7, 12, v0
	v_cmp_gt_i32_e32 vcc, 1, v7
	v_cndmask_b32_e32 v6, v8, v6, vcc
	v_and_b32_e32 v8, 7, v6
	v_cmp_lt_i32_e32 vcc, 5, v8
	v_cmp_eq_u32_e64 s[0:1], 3, v8
	v_lshrrev_b32_e32 v6, 2, v6
	s_or_b64 vcc, s[0:1], vcc
	v_addc_co_u32_e32 v6, vcc, 0, v6, vcc
	v_cmp_gt_i32_e32 vcc, 31, v7
	v_cndmask_b32_e32 v6, v4, v6, vcc
	v_cmp_ne_u32_e32 vcc, 0, v0
	v_cndmask_b32_e64 v0, 0, 1, vcc
	v_lshl_or_b32 v0, v0, 9, v4
	v_cmp_eq_u32_e32 vcc, s16, v7
	v_cndmask_b32_e32 v0, v6, v0, vcc
	v_lshrrev_b32_e32 v1, 16, v1
	v_and_or_b32 v0, v1, s10, v0
	v_and_b32_e32 v1, 0xffff, v5
	v_lshl_or_b32 v4, v0, 16, v1
	v_mov_b32_e32 v1, s2
	v_add_co_u32_e32 v0, vcc, s3, v2
	v_addc_co_u32_e32 v1, vcc, v3, v1, vcc
	global_store_dword v[0:1], v4, off
.LBB0_23:
	s_endpgm
	.section	.rodata,"a",@progbits
	.p2align	6, 0x0
	.amdhsa_kernel bluestein_single_fwd_len525_dim1_half_op_CI_CI
		.amdhsa_group_segment_fixed_size 2100
		.amdhsa_private_segment_fixed_size 0
		.amdhsa_kernarg_size 104
		.amdhsa_user_sgpr_count 6
		.amdhsa_user_sgpr_private_segment_buffer 1
		.amdhsa_user_sgpr_dispatch_ptr 0
		.amdhsa_user_sgpr_queue_ptr 0
		.amdhsa_user_sgpr_kernarg_segment_ptr 1
		.amdhsa_user_sgpr_dispatch_id 0
		.amdhsa_user_sgpr_flat_scratch_init 0
		.amdhsa_user_sgpr_private_segment_size 0
		.amdhsa_uses_dynamic_stack 0
		.amdhsa_system_sgpr_private_segment_wavefront_offset 0
		.amdhsa_system_sgpr_workgroup_id_x 1
		.amdhsa_system_sgpr_workgroup_id_y 0
		.amdhsa_system_sgpr_workgroup_id_z 0
		.amdhsa_system_sgpr_workgroup_info 0
		.amdhsa_system_vgpr_workitem_id 0
		.amdhsa_next_free_vgpr 60
		.amdhsa_next_free_sgpr 20
		.amdhsa_reserve_vcc 1
		.amdhsa_reserve_flat_scratch 0
		.amdhsa_float_round_mode_32 0
		.amdhsa_float_round_mode_16_64 0
		.amdhsa_float_denorm_mode_32 3
		.amdhsa_float_denorm_mode_16_64 3
		.amdhsa_dx10_clamp 1
		.amdhsa_ieee_mode 1
		.amdhsa_fp16_overflow 0
		.amdhsa_exception_fp_ieee_invalid_op 0
		.amdhsa_exception_fp_denorm_src 0
		.amdhsa_exception_fp_ieee_div_zero 0
		.amdhsa_exception_fp_ieee_overflow 0
		.amdhsa_exception_fp_ieee_underflow 0
		.amdhsa_exception_fp_ieee_inexact 0
		.amdhsa_exception_int_div_zero 0
	.end_amdhsa_kernel
	.text
.Lfunc_end0:
	.size	bluestein_single_fwd_len525_dim1_half_op_CI_CI, .Lfunc_end0-bluestein_single_fwd_len525_dim1_half_op_CI_CI
                                        ; -- End function
	.section	.AMDGPU.csdata,"",@progbits
; Kernel info:
; codeLenInByte = 10376
; NumSgprs: 24
; NumVgprs: 60
; ScratchSize: 0
; MemoryBound: 0
; FloatMode: 240
; IeeeMode: 1
; LDSByteSize: 2100 bytes/workgroup (compile time only)
; SGPRBlocks: 2
; VGPRBlocks: 14
; NumSGPRsForWavesPerEU: 24
; NumVGPRsForWavesPerEU: 60
; Occupancy: 4
; WaveLimiterHint : 1
; COMPUTE_PGM_RSRC2:SCRATCH_EN: 0
; COMPUTE_PGM_RSRC2:USER_SGPR: 6
; COMPUTE_PGM_RSRC2:TRAP_HANDLER: 0
; COMPUTE_PGM_RSRC2:TGID_X_EN: 1
; COMPUTE_PGM_RSRC2:TGID_Y_EN: 0
; COMPUTE_PGM_RSRC2:TGID_Z_EN: 0
; COMPUTE_PGM_RSRC2:TIDIG_COMP_CNT: 0
	.type	__hip_cuid_d46e6b2fd239b1a4,@object ; @__hip_cuid_d46e6b2fd239b1a4
	.section	.bss,"aw",@nobits
	.globl	__hip_cuid_d46e6b2fd239b1a4
__hip_cuid_d46e6b2fd239b1a4:
	.byte	0                               ; 0x0
	.size	__hip_cuid_d46e6b2fd239b1a4, 1

	.ident	"AMD clang version 19.0.0git (https://github.com/RadeonOpenCompute/llvm-project roc-6.4.0 25133 c7fe45cf4b819c5991fe208aaa96edf142730f1d)"
	.section	".note.GNU-stack","",@progbits
	.addrsig
	.addrsig_sym __hip_cuid_d46e6b2fd239b1a4
	.amdgpu_metadata
---
amdhsa.kernels:
  - .args:
      - .actual_access:  read_only
        .address_space:  global
        .offset:         0
        .size:           8
        .value_kind:     global_buffer
      - .actual_access:  read_only
        .address_space:  global
        .offset:         8
        .size:           8
        .value_kind:     global_buffer
      - .actual_access:  read_only
        .address_space:  global
        .offset:         16
        .size:           8
        .value_kind:     global_buffer
      - .actual_access:  read_only
        .address_space:  global
        .offset:         24
        .size:           8
        .value_kind:     global_buffer
      - .actual_access:  read_only
        .address_space:  global
        .offset:         32
        .size:           8
        .value_kind:     global_buffer
      - .offset:         40
        .size:           8
        .value_kind:     by_value
      - .address_space:  global
        .offset:         48
        .size:           8
        .value_kind:     global_buffer
      - .address_space:  global
        .offset:         56
        .size:           8
        .value_kind:     global_buffer
      - .address_space:  global
        .offset:         64
        .size:           8
        .value_kind:     global_buffer
      - .address_space:  global
        .offset:         72
        .size:           8
        .value_kind:     global_buffer
      - .offset:         80
        .size:           4
        .value_kind:     by_value
      - .address_space:  global
        .offset:         88
        .size:           8
        .value_kind:     global_buffer
      - .address_space:  global
        .offset:         96
        .size:           8
        .value_kind:     global_buffer
    .group_segment_fixed_size: 2100
    .kernarg_segment_align: 8
    .kernarg_segment_size: 104
    .language:       OpenCL C
    .language_version:
      - 2
      - 0
    .max_flat_workgroup_size: 105
    .name:           bluestein_single_fwd_len525_dim1_half_op_CI_CI
    .private_segment_fixed_size: 0
    .sgpr_count:     24
    .sgpr_spill_count: 0
    .symbol:         bluestein_single_fwd_len525_dim1_half_op_CI_CI.kd
    .uniform_work_group_size: 1
    .uses_dynamic_stack: false
    .vgpr_count:     60
    .vgpr_spill_count: 0
    .wavefront_size: 64
amdhsa.target:   amdgcn-amd-amdhsa--gfx906
amdhsa.version:
  - 1
  - 2
...

	.end_amdgpu_metadata
